;; amdgpu-corpus repo=ROCm/rocFFT kind=compiled arch=gfx906 opt=O3
	.text
	.amdgcn_target "amdgcn-amd-amdhsa--gfx906"
	.amdhsa_code_object_version 6
	.protected	bluestein_single_back_len480_dim1_sp_op_CI_CI ; -- Begin function bluestein_single_back_len480_dim1_sp_op_CI_CI
	.globl	bluestein_single_back_len480_dim1_sp_op_CI_CI
	.p2align	8
	.type	bluestein_single_back_len480_dim1_sp_op_CI_CI,@function
bluestein_single_back_len480_dim1_sp_op_CI_CI: ; @bluestein_single_back_len480_dim1_sp_op_CI_CI
; %bb.0:
	s_load_dwordx4 s[8:11], s[4:5], 0x28
	s_mov_b64 s[22:23], s[2:3]
	v_lshrrev_b32_e32 v1, 4, v0
	v_mov_b32_e32 v45, 0
	s_mov_b64 s[20:21], s[0:1]
	v_lshl_or_b32 v208, s6, 2, v1
	v_mov_b32_e32 v209, v45
	s_add_u32 s20, s20, s7
	s_waitcnt lgkmcnt(0)
	v_cmp_gt_u64_e32 vcc, s[8:9], v[208:209]
	s_addc_u32 s21, s21, 0
	s_and_saveexec_b64 s[0:1], vcc
	s_cbranch_execz .LBB0_10
; %bb.1:
	s_load_dwordx4 s[16:19], s[4:5], 0x18
	s_load_dwordx4 s[12:15], s[4:5], 0x0
	v_and_b32_e32 v231, 15, v0
	v_lshlrev_b32_e32 v122, 3, v231
	v_mov_b32_e32 v39, 0xfffff300
	s_waitcnt lgkmcnt(0)
	s_load_dwordx4 s[0:3], s[16:17], 0x0
	global_load_dwordx2 v[33:34], v122, s[12:13]
	global_load_dwordx2 v[160:161], v122, s[12:13] offset:384
	global_load_dwordx2 v[253:254], v122, s[12:13] offset:768
	global_load_dwordx2 v[35:36], v122, s[12:13] offset:1152
	s_waitcnt lgkmcnt(0)
	v_mad_u64_u32 v[2:3], s[6:7], s2, v208, 0
	v_mad_u64_u32 v[4:5], s[6:7], s0, v231, 0
	v_mov_b32_e32 v0, v3
	s_mul_hi_u32 s6, s0, 0x180
	v_mov_b32_e32 v3, v5
	v_mad_u64_u32 v[5:6], s[2:3], s3, v208, v[0:1]
	v_mad_u64_u32 v[6:7], s[2:3], s1, v231, v[3:4]
	v_mov_b32_e32 v3, v5
	v_lshlrev_b64 v[2:3], 3, v[2:3]
	v_mov_b32_e32 v5, v6
	v_mov_b32_e32 v0, s11
	v_lshlrev_b64 v[4:5], 3, v[4:5]
	v_add_co_u32_e32 v2, vcc, s10, v2
	v_addc_co_u32_e32 v0, vcc, v0, v3, vcc
	v_add_co_u32_e32 v2, vcc, v2, v4
	v_addc_co_u32_e32 v3, vcc, v0, v5, vcc
	global_load_dwordx2 v[4:5], v[2:3], off
	s_mul_i32 s2, s1, 0x180
	s_add_i32 s6, s6, s2
	s_mul_i32 s7, s0, 0x180
	v_mov_b32_e32 v0, s6
	v_add_co_u32_e32 v2, vcc, s7, v2
	v_addc_co_u32_e32 v3, vcc, v3, v0, vcc
	v_add_co_u32_e32 v6, vcc, s7, v2
	v_addc_co_u32_e32 v7, vcc, v3, v0, vcc
	;; [unrolled: 2-line block ×4, first 2 shown]
	global_load_dwordx2 v[12:13], v[2:3], off
	global_load_dwordx2 v[14:15], v[6:7], off
	global_load_dwordx2 v[16:17], v[8:9], off
	global_load_dwordx2 v[18:19], v[10:11], off
	global_load_dwordx2 v[154:155], v122, s[12:13] offset:1536
	v_add_co_u32_e32 v2, vcc, s7, v10
	v_addc_co_u32_e32 v3, vcc, v11, v0, vcc
	global_load_dwordx2 v[6:7], v[2:3], off
	global_load_dwordx2 v[156:157], v122, s[12:13] offset:1920
	v_add_co_u32_e32 v2, vcc, s7, v2
	v_addc_co_u32_e32 v3, vcc, v3, v0, vcc
	global_load_dwordx2 v[8:9], v[2:3], off
	;; [unrolled: 4-line block ×5, first 2 shown]
	v_mad_u64_u32 v[2:3], s[2:3], s0, v39, v[2:3]
	s_mulk_i32 s1, 0xf300
	s_sub_i32 s1, s1, s0
	v_add_u32_e32 v3, s1, v3
	global_load_dwordx2 v[174:175], v122, s[12:13] offset:3456
	global_load_dwordx2 v[25:26], v[2:3], off
	global_load_dwordx2 v[172:173], v122, s[12:13] offset:128
	v_add_co_u32_e32 v2, vcc, s7, v2
	v_addc_co_u32_e32 v3, vcc, v3, v0, vcc
	global_load_dwordx2 v[27:28], v[2:3], off
	global_load_dwordx2 v[162:163], v122, s[12:13] offset:512
	v_add_co_u32_e32 v2, vcc, s7, v2
	v_addc_co_u32_e32 v3, vcc, v3, v0, vcc
	global_load_dwordx2 v[29:30], v[2:3], off
	global_load_dwordx2 v[170:171], v122, s[12:13] offset:896
	v_add_co_u32_e32 v2, vcc, s7, v2
	v_mul_u32_u24_e32 v90, 0x1e0, v1
	v_addc_co_u32_e32 v3, vcc, v3, v0, vcc
	v_or_b32_e32 v1, v90, v231
	global_load_dwordx2 v[31:32], v[2:3], off
	global_load_dwordx2 v[168:169], v122, s[12:13] offset:1280
	s_load_dwordx2 s[2:3], s[4:5], 0x38
	s_load_dwordx4 s[8:11], s[18:19], 0x0
	global_load_dwordx2 v[176:177], v122, s[12:13] offset:256
	v_lshlrev_b32_e32 v255, 3, v1
	v_lshl_or_b32 v232, v90, 3, v122
	v_add_co_u32_e32 v2, vcc, s7, v2
	v_or_b32_e32 v44, 48, v231
	v_mov_b32_e32 v22, s13
	s_waitcnt vmcnt(24)
	v_mul_f32_e32 v0, v5, v34
	v_fmac_f32_e32 v0, v4, v33
	v_mul_f32_e32 v1, v4, v34
	buffer_store_dword v33, off, s[20:23], 0 offset:4 ; 4-byte Folded Spill
	s_nop 0
	buffer_store_dword v34, off, s[20:23], 0 offset:8 ; 4-byte Folded Spill
	global_load_dwordx2 v[178:179], v122, s[12:13] offset:640
	s_waitcnt vmcnt(25)
	v_mul_f32_e32 v4, v15, v254
	v_fmac_f32_e32 v4, v14, v253
	v_fma_f32 v1, v5, v33, -v1
	ds_write_b64 v255, v[0:1]
	v_mul_f32_e32 v0, v13, v161
	v_fmac_f32_e32 v0, v12, v160
	v_mul_f32_e32 v1, v12, v161
	s_waitcnt vmcnt(24)
	v_mul_f32_e32 v12, v17, v36
	v_fma_f32 v1, v13, v160, -v1
	global_load_dwordx2 v[180:181], v122, s[12:13] offset:1408
	global_load_dwordx2 v[184:185], v122, s[12:13] offset:1024
	v_fmac_f32_e32 v12, v16, v35
	v_mul_f32_e32 v13, v16, v36
	buffer_store_dword v35, off, s[20:23], 0 offset:12 ; 4-byte Folded Spill
	s_nop 0
	buffer_store_dword v36, off, s[20:23], 0 offset:16 ; 4-byte Folded Spill
	s_waitcnt vmcnt(24)
	v_mul_f32_e32 v16, v7, v157
	v_fmac_f32_e32 v16, v6, v156
	v_mul_f32_e32 v6, v6, v157
	v_mul_f32_e32 v5, v14, v254
	v_fma_f32 v5, v15, v253, -v5
	v_mul_f32_e32 v15, v18, v155
	v_mul_f32_e32 v14, v19, v155
	v_fma_f32 v15, v19, v154, -v15
	s_waitcnt vmcnt(16)
	v_mul_f32_e32 v19, v23, v175
	v_fmac_f32_e32 v14, v18, v154
	v_mul_f32_e32 v18, v24, v175
	v_fma_f32 v19, v24, v174, -v19
	s_waitcnt vmcnt(12)
	v_mul_f32_e32 v24, v28, v163
	v_fmac_f32_e32 v24, v27, v162
	global_load_dwordx2 v[200:201], v122, s[12:13] offset:1664
	global_load_dwordx2 v[182:183], v122, s[12:13] offset:1792
	;; [unrolled: 1-line block ×10, first 2 shown]
	v_fmac_f32_e32 v18, v23, v174
	v_or_b32_e32 v23, 16, v231
	v_fma_f32 v13, v17, v35, -v13
	v_fma_f32 v17, v7, v156, -v6
	v_mul_f32_e32 v6, v9, v165
	v_fmac_f32_e32 v6, v8, v164
	v_mul_f32_e32 v7, v8, v165
	v_mul_f32_e32 v8, v11, v159
	v_fma_f32 v7, v9, v164, -v7
	v_fmac_f32_e32 v8, v10, v158
	v_mul_f32_e32 v9, v10, v159
	v_mul_f32_e32 v10, v21, v167
	v_fma_f32 v9, v11, v158, -v9
	;; [unrolled: 4-line block ×4, first 2 shown]
	ds_write2_b64 v232, v[0:1], v[24:25] offset0:48 offset1:64
	v_mov_b32_e32 v25, s6
	v_addc_co_u32_e32 v3, vcc, v3, v25, vcc
	v_fma_f32 v21, v26, v172, -v21
	global_load_dwordx2 v[26:27], v[2:3], off
	v_add_co_u32_e32 v2, vcc, s7, v2
	s_waitcnt vmcnt(21)
	v_mul_f32_e32 v0, v30, v171
	v_addc_co_u32_e32 v3, vcc, v3, v25, vcc
	v_fmac_f32_e32 v0, v29, v170
	v_mul_f32_e32 v1, v29, v171
	global_load_dwordx2 v[28:29], v[2:3], off
	v_add_co_u32_e32 v2, vcc, s7, v2
	v_addc_co_u32_e32 v3, vcc, v3, v25, vcc
	global_load_dwordx2 v[33:34], v[2:3], off
	v_add_co_u32_e32 v2, vcc, s7, v2
	v_addc_co_u32_e32 v3, vcc, v3, v25, vcc
	;; [unrolled: 3-line block ×3, first 2 shown]
	v_add_co_u32_e32 v37, vcc, s7, v2
	v_addc_co_u32_e32 v38, vcc, v3, v25, vcc
	v_mad_u64_u32 v[39:40], s[4:5], s0, v39, v[37:38]
	global_load_dwordx2 v[41:42], v[2:3], off
	global_load_dwordx2 v[46:47], v[37:38], off
	global_load_dwordx2 v[206:207], v122, s[12:13] offset:3584
	s_waitcnt vmcnt(25)
	v_mul_f32_e32 v24, v32, v169
	v_add_u32_e32 v40, s1, v40
	global_load_dwordx2 v[2:3], v[39:40], off
	v_add_co_u32_e32 v37, vcc, s7, v39
	v_addc_co_u32_e32 v38, vcc, v40, v25, vcc
	global_load_dwordx2 v[39:40], v[37:38], off
	v_add_co_u32_e32 v37, vcc, s7, v37
	v_addc_co_u32_e32 v38, vcc, v38, v25, vcc
	;; [unrolled: 3-line block ×9, first 2 shown]
	global_load_dwordx2 v[62:63], v[37:38], off
	global_load_dwordx2 v[194:195], v122, s[12:13] offset:3712
	v_mul_f32_e32 v25, v31, v169
	v_fmac_f32_e32 v24, v31, v168
	v_fma_f32 v25, v32, v168, -v25
	ds_write2_b64 v232, v[12:13], v[24:25] offset0:144 offset1:160
	v_add_u32_e32 v37, 0x400, v232
	s_waitcnt vmcnt(17)
	v_mul_f32_e32 v12, v27, v201
	v_fmac_f32_e32 v12, v26, v200
	v_mul_f32_e32 v13, v26, v201
	v_fma_f32 v1, v30, v170, -v1
	v_fma_f32 v13, v27, v200, -v13
	s_waitcnt vmcnt(16)
	v_mul_f32_e32 v24, v29, v203
	v_mul_f32_e32 v25, v28, v203
	v_fmac_f32_e32 v24, v28, v202
	v_fma_f32 v25, v29, v202, -v25
	ds_write2_b64 v37, v[16:17], v[24:25] offset0:112 offset1:128
	s_waitcnt vmcnt(15)
	v_mul_f32_e32 v16, v34, v197
	v_mul_f32_e32 v17, v33, v197
	v_fmac_f32_e32 v16, v33, v196
	v_fma_f32 v17, v34, v196, -v17
	s_mov_b32 s5, 0x3f167918
	s_waitcnt vmcnt(14)
	v_mul_f32_e32 v25, v36, v199
	v_mul_f32_e32 v24, v35, v199
	v_fmac_f32_e32 v25, v35, v198
	v_fma_f32 v26, v36, v198, -v24
	v_add_u32_e32 v24, 0x800, v232
	ds_write2_b64 v24, v[8:9], v[25:26] offset0:80 offset1:96
	s_mov_b32 s1, 0xbf167918
	s_mov_b32 s4, 0x3f737871
	;; [unrolled: 1-line block ×3, first 2 shown]
	s_waitcnt vmcnt(13)
	v_mul_f32_e32 v8, v42, v205
	v_mul_f32_e32 v9, v41, v205
	s_waitcnt vmcnt(11)
	v_mul_f32_e32 v25, v47, v207
	v_mul_f32_e32 v26, v46, v207
	v_fmac_f32_e32 v25, v46, v206
	v_fma_f32 v26, v47, v206, -v26
	ds_write2_b64 v24, v[18:19], v[25:26] offset0:176 offset1:192
	s_waitcnt vmcnt(10)
	v_mul_f32_e32 v18, v3, v177
	v_fmac_f32_e32 v18, v2, v176
	v_mul_f32_e32 v2, v2, v177
	v_fma_f32 v19, v3, v176, -v2
	s_waitcnt vmcnt(9)
	v_mul_f32_e32 v2, v40, v179
	v_mul_f32_e32 v3, v39, v179
	v_fmac_f32_e32 v2, v39, v178
	v_fma_f32 v3, v40, v178, -v3
	ds_write2_b64 v232, v[2:3], v[4:5] offset0:80 offset1:96
	s_waitcnt vmcnt(8)
	v_mul_f32_e32 v2, v49, v185
	v_mul_f32_e32 v3, v48, v185
	v_fmac_f32_e32 v2, v48, v184
	v_fma_f32 v3, v49, v184, -v3
	ds_write2_b64 v232, v[0:1], v[2:3] offset0:112 offset1:128
	s_waitcnt vmcnt(7)
	v_mul_f32_e32 v0, v51, v181
	v_mul_f32_e32 v1, v50, v181
	v_fmac_f32_e32 v0, v50, v180
	v_fma_f32 v1, v51, v180, -v1
	ds_write2_b64 v232, v[0:1], v[14:15] offset0:176 offset1:192
	s_waitcnt vmcnt(6)
	v_mul_f32_e32 v0, v53, v183
	v_mul_f32_e32 v1, v52, v183
	v_fmac_f32_e32 v0, v52, v182
	v_fma_f32 v1, v53, v182, -v1
	ds_write2_b64 v232, v[12:13], v[0:1] offset0:208 offset1:224
	s_waitcnt vmcnt(5)
	v_mul_f32_e32 v0, v55, v187
	v_mul_f32_e32 v1, v54, v187
	v_fmac_f32_e32 v0, v54, v186
	v_fma_f32 v1, v55, v186, -v1
	ds_write2_b64 v24, v[0:1], v[6:7] offset0:16 offset1:32
	s_waitcnt vmcnt(4)
	v_mul_f32_e32 v0, v57, v193
	v_mul_f32_e32 v1, v56, v193
	v_fmac_f32_e32 v0, v56, v192
	v_fma_f32 v1, v57, v192, -v1
	ds_write2_b64 v24, v[16:17], v[0:1] offset0:48 offset1:64
	s_waitcnt vmcnt(3)
	v_mul_f32_e32 v0, v59, v189
	v_mul_f32_e32 v1, v58, v189
	v_fmac_f32_e32 v0, v58, v188
	v_fma_f32 v1, v59, v188, -v1
	ds_write2_b64 v24, v[0:1], v[10:11] offset0:112 offset1:128
	s_waitcnt vmcnt(2)
	v_mul_f32_e32 v0, v61, v191
	v_mul_f32_e32 v1, v60, v191
	v_fmac_f32_e32 v8, v41, v204
	v_fma_f32 v9, v42, v204, -v9
	v_fmac_f32_e32 v0, v60, v190
	v_fma_f32 v1, v61, v190, -v1
	ds_write2_b64 v24, v[8:9], v[0:1] offset0:144 offset1:160
	s_waitcnt vmcnt(0)
	v_mul_f32_e32 v0, v63, v195
	v_mul_f32_e32 v1, v62, v195
	v_fmac_f32_e32 v0, v62, v194
	v_fma_f32 v1, v63, v194, -v1
	ds_write2_b64 v232, v[20:21], v[18:19] offset0:16 offset1:32
	ds_write_b64 v232, v[0:1] offset:3712
	s_waitcnt lgkmcnt(0)
	; wave barrier
	s_waitcnt lgkmcnt(0)
	ds_read2_b64 v[25:28], v232 offset0:48 offset1:64
	ds_read2_b64 v[0:3], v232 offset0:80 offset1:96
	;; [unrolled: 1-line block ×11, first 2 shown]
	ds_read_b64 v[33:34], v255
	ds_read2_b64 v[58:61], v232 offset0:208 offset1:224
	ds_read2_b64 v[62:65], v24 offset0:48 offset1:64
	;; [unrolled: 1-line block ×3, first 2 shown]
	ds_read_b64 v[20:21], v232 offset:3712
	s_waitcnt lgkmcnt(10)
	v_add_f32_e32 v41, v10, v14
	s_waitcnt lgkmcnt(4)
	v_fma_f32 v41, -0.5, v41, v33
	v_sub_f32_e32 v42, v3, v19
	v_mov_b32_e32 v43, v41
	v_fmac_f32_e32 v43, 0x3f737871, v42
	v_sub_f32_e32 v70, v11, v15
	v_sub_f32_e32 v71, v2, v10
	;; [unrolled: 1-line block ×3, first 2 shown]
	v_fmac_f32_e32 v41, 0xbf737871, v42
	v_fmac_f32_e32 v43, 0x3f167918, v70
	v_add_f32_e32 v71, v71, v72
	v_fmac_f32_e32 v41, 0xbf167918, v70
	v_fmac_f32_e32 v43, 0x3e9e377a, v71
	;; [unrolled: 1-line block ×3, first 2 shown]
	v_add_f32_e32 v71, v2, v18
	v_add_f32_e32 v35, v33, v2
	v_fma_f32 v33, -0.5, v71, v33
	v_mov_b32_e32 v81, v33
	v_add_f32_e32 v35, v35, v10
	v_fmac_f32_e32 v81, 0xbf737871, v70
	v_fmac_f32_e32 v33, 0x3f737871, v70
	v_add_f32_e32 v70, v11, v15
	v_add_f32_e32 v35, v35, v14
	v_fma_f32 v89, -0.5, v70, v34
	v_add_f32_e32 v35, v35, v18
	v_sub_f32_e32 v71, v10, v2
	v_sub_f32_e32 v72, v14, v18
	;; [unrolled: 1-line block ×3, first 2 shown]
	v_mov_b32_e32 v18, v89
	v_fmac_f32_e32 v18, 0xbf737871, v2
	v_sub_f32_e32 v10, v10, v14
	v_sub_f32_e32 v14, v3, v11
	;; [unrolled: 1-line block ×3, first 2 shown]
	v_fmac_f32_e32 v89, 0x3f737871, v2
	v_fmac_f32_e32 v18, 0xbf167918, v10
	v_add_f32_e32 v14, v14, v70
	v_fmac_f32_e32 v89, 0x3f167918, v10
	v_fmac_f32_e32 v18, 0x3e9e377a, v14
	;; [unrolled: 1-line block ×3, first 2 shown]
	v_add_f32_e32 v14, v3, v19
	v_fmac_f32_e32 v81, 0x3f167918, v42
	v_fmac_f32_e32 v33, 0xbf167918, v42
	v_add_f32_e32 v42, v34, v3
	v_fmac_f32_e32 v34, -0.5, v14
	v_mov_b32_e32 v14, v34
	v_add_f32_e32 v42, v42, v11
	v_fmac_f32_e32 v14, 0x3f737871, v10
	v_sub_f32_e32 v3, v11, v3
	v_sub_f32_e32 v11, v15, v19
	v_fmac_f32_e32 v34, 0xbf737871, v10
	v_fmac_f32_e32 v14, 0xbf167918, v2
	v_add_f32_e32 v3, v3, v11
	v_fmac_f32_e32 v34, 0x3f167918, v2
	v_fmac_f32_e32 v14, 0x3e9e377a, v3
	;; [unrolled: 1-line block ×3, first 2 shown]
	v_add_f32_e32 v3, v37, v46
	v_fma_f32 v3, -0.5, v3, v25
	v_add_f32_e32 v42, v42, v15
	v_sub_f32_e32 v10, v30, v51
	v_mov_b32_e32 v11, v3
	v_add_f32_e32 v42, v42, v19
	v_fmac_f32_e32 v11, 0x3f737871, v10
	v_sub_f32_e32 v15, v38, v47
	v_sub_f32_e32 v19, v29, v37
	;; [unrolled: 1-line block ×3, first 2 shown]
	v_fmac_f32_e32 v3, 0xbf737871, v10
	v_fmac_f32_e32 v11, 0x3f167918, v15
	v_add_f32_e32 v19, v19, v70
	v_fmac_f32_e32 v3, 0xbf167918, v15
	v_fmac_f32_e32 v11, 0x3e9e377a, v19
	;; [unrolled: 1-line block ×3, first 2 shown]
	v_add_f32_e32 v19, v29, v50
	v_fma_f32 v19, -0.5, v19, v25
	v_add_f32_e32 v2, v25, v29
	v_mov_b32_e32 v25, v19
	v_add_f32_e32 v71, v71, v72
	v_add_f32_e32 v2, v2, v37
	v_fmac_f32_e32 v25, 0xbf737871, v15
	v_fmac_f32_e32 v19, 0x3f737871, v15
	v_add_f32_e32 v15, v38, v47
	v_fmac_f32_e32 v81, 0x3e9e377a, v71
	v_fmac_f32_e32 v33, 0x3e9e377a, v71
	v_add_f32_e32 v2, v2, v46
	v_sub_f32_e32 v70, v37, v29
	v_sub_f32_e32 v71, v46, v50
	v_fma_f32 v15, -0.5, v15, v26
	v_add_f32_e32 v2, v2, v50
	v_fmac_f32_e32 v25, 0x3f167918, v10
	v_add_f32_e32 v70, v70, v71
	v_fmac_f32_e32 v19, 0xbf167918, v10
	v_sub_f32_e32 v29, v29, v50
	v_mov_b32_e32 v50, v15
	v_fmac_f32_e32 v25, 0x3e9e377a, v70
	v_fmac_f32_e32 v19, 0x3e9e377a, v70
	;; [unrolled: 1-line block ×3, first 2 shown]
	v_sub_f32_e32 v37, v37, v46
	v_sub_f32_e32 v46, v30, v38
	;; [unrolled: 1-line block ×3, first 2 shown]
	v_fmac_f32_e32 v15, 0x3f737871, v29
	v_fmac_f32_e32 v50, 0xbf167918, v37
	v_add_f32_e32 v46, v46, v70
	v_fmac_f32_e32 v15, 0x3f167918, v37
	v_fmac_f32_e32 v50, 0x3e9e377a, v46
	v_fmac_f32_e32 v15, 0x3e9e377a, v46
	v_add_f32_e32 v46, v30, v51
	v_add_f32_e32 v10, v26, v30
	v_fma_f32 v26, -0.5, v46, v26
	v_mov_b32_e32 v46, v26
	v_add_f32_e32 v10, v10, v38
	v_fmac_f32_e32 v46, 0x3f737871, v37
	v_sub_f32_e32 v30, v38, v30
	v_sub_f32_e32 v38, v47, v51
	v_fmac_f32_e32 v46, 0xbf167918, v29
	v_add_f32_e32 v30, v30, v38
	v_fmac_f32_e32 v26, 0xbf737871, v37
	v_fmac_f32_e32 v46, 0x3e9e377a, v30
	;; [unrolled: 1-line block ×3, first 2 shown]
	v_add_f32_e32 v70, v35, v2
	v_sub_f32_e32 v80, v35, v2
	v_add_f32_e32 v2, v4, v54
	v_add_f32_e32 v10, v10, v47
	v_fmac_f32_e32 v26, 0x3e9e377a, v30
	v_mul_f32_e32 v30, 0x3f737871, v46
	s_waitcnt lgkmcnt(3)
	v_add_f32_e32 v2, v2, v58
	v_add_f32_e32 v10, v10, v51
	v_mul_f32_e32 v29, 0x3f4f1bbd, v11
	v_fmac_f32_e32 v30, 0x3e9e377a, v25
	v_mul_f32_e32 v11, 0xbf167918, v11
	s_waitcnt lgkmcnt(2)
	v_add_f32_e32 v2, v2, v62
	v_add_f32_e32 v74, v81, v30
	v_mul_f32_e32 v38, 0x3f4f1bbd, v3
	v_add_f32_e32 v71, v42, v10
	v_fmac_f32_e32 v11, 0x3f4f1bbd, v50
	v_mul_f32_e32 v25, 0xbf737871, v25
	v_sub_f32_e32 v84, v81, v30
	v_sub_f32_e32 v81, v42, v10
	s_waitcnt lgkmcnt(1)
	v_add_f32_e32 v10, v2, v66
	v_add_f32_e32 v2, v58, v62
	v_fma_f32 v38, v15, s5, -v38
	v_add_f32_e32 v73, v18, v11
	v_fmac_f32_e32 v25, 0x3e9e377a, v46
	v_mul_f32_e32 v15, 0x3f4f1bbd, v15
	v_sub_f32_e32 v83, v18, v11
	v_fma_f32 v11, -0.5, v2, v4
	v_add_f32_e32 v75, v14, v25
	v_fma_f32 v3, v3, s1, -v15
	v_sub_f32_e32 v85, v14, v25
	v_sub_f32_e32 v2, v55, v67
	v_mov_b32_e32 v14, v11
	v_add_f32_e32 v79, v89, v3
	v_sub_f32_e32 v89, v89, v3
	v_fmac_f32_e32 v14, 0x3f737871, v2
	v_sub_f32_e32 v3, v59, v63
	v_sub_f32_e32 v15, v54, v58
	;; [unrolled: 1-line block ×3, first 2 shown]
	v_fmac_f32_e32 v11, 0xbf737871, v2
	v_fmac_f32_e32 v14, 0x3f167918, v3
	v_add_f32_e32 v15, v15, v18
	v_fmac_f32_e32 v11, 0xbf167918, v3
	v_fmac_f32_e32 v14, 0x3e9e377a, v15
	v_fmac_f32_e32 v11, 0x3e9e377a, v15
	v_add_f32_e32 v15, v54, v66
	v_fma_f32 v15, -0.5, v15, v4
	v_mov_b32_e32 v18, v15
	v_mul_f32_e32 v37, 0x3e9e377a, v19
	v_fmac_f32_e32 v18, 0xbf737871, v3
	v_fmac_f32_e32 v15, 0x3f737871, v3
	v_fma_f32 v37, v26, s4, -v37
	v_mul_f32_e32 v26, 0x3e9e377a, v26
	v_fmac_f32_e32 v18, 0x3f167918, v2
	v_fmac_f32_e32 v15, 0xbf167918, v2
	v_add_f32_e32 v2, v5, v55
	v_fma_f32 v19, v19, s0, -v26
	v_add_f32_e32 v2, v2, v59
	v_add_f32_e32 v77, v34, v19
	v_sub_f32_e32 v87, v34, v19
	v_sub_f32_e32 v4, v58, v54
	;; [unrolled: 1-line block ×3, first 2 shown]
	v_add_f32_e32 v2, v2, v63
	v_add_f32_e32 v4, v4, v19
	;; [unrolled: 1-line block ×5, first 2 shown]
	v_sub_f32_e32 v86, v33, v37
	v_fma_f32 v33, -0.5, v2, v5
	v_sub_f32_e32 v2, v54, v66
	v_mov_b32_e32 v34, v33
	v_fmac_f32_e32 v18, 0x3e9e377a, v4
	v_fmac_f32_e32 v15, 0x3e9e377a, v4
	;; [unrolled: 1-line block ×3, first 2 shown]
	v_sub_f32_e32 v3, v58, v62
	v_sub_f32_e32 v4, v55, v59
	;; [unrolled: 1-line block ×3, first 2 shown]
	v_fmac_f32_e32 v33, 0x3f737871, v2
	v_fmac_f32_e32 v34, 0xbf167918, v3
	v_add_f32_e32 v4, v4, v25
	v_fmac_f32_e32 v33, 0x3f167918, v3
	v_fmac_f32_e32 v34, 0x3e9e377a, v4
	;; [unrolled: 1-line block ×3, first 2 shown]
	v_add_f32_e32 v4, v55, v67
	v_fma_f32 v35, -0.5, v4, v5
	v_add_f32_e32 v78, v41, v38
	v_sub_f32_e32 v88, v41, v38
	v_mov_b32_e32 v41, v35
	v_fmac_f32_e32 v41, 0x3f737871, v3
	v_fmac_f32_e32 v35, 0xbf737871, v3
	;; [unrolled: 1-line block ×4, first 2 shown]
	v_add_f32_e32 v2, v27, v31
	v_add_f32_e32 v2, v2, v39
	;; [unrolled: 1-line block ×5, first 2 shown]
	v_sub_f32_e32 v4, v59, v55
	v_sub_f32_e32 v5, v63, v67
	v_fma_f32 v30, -0.5, v2, v27
	v_add_f32_e32 v4, v4, v5
	v_sub_f32_e32 v2, v32, v53
	v_mov_b32_e32 v5, v30
	v_fmac_f32_e32 v41, 0x3e9e377a, v4
	v_fmac_f32_e32 v35, 0x3e9e377a, v4
	;; [unrolled: 1-line block ×3, first 2 shown]
	v_sub_f32_e32 v3, v40, v49
	v_sub_f32_e32 v4, v31, v39
	;; [unrolled: 1-line block ×3, first 2 shown]
	v_fmac_f32_e32 v30, 0xbf737871, v2
	v_fmac_f32_e32 v5, 0x3f167918, v3
	v_add_f32_e32 v4, v4, v25
	v_fmac_f32_e32 v30, 0xbf167918, v3
	v_fmac_f32_e32 v5, 0x3e9e377a, v4
	;; [unrolled: 1-line block ×3, first 2 shown]
	v_add_f32_e32 v4, v31, v52
	v_fma_f32 v38, -0.5, v4, v27
	v_mov_b32_e32 v26, v38
	v_fmac_f32_e32 v26, 0xbf737871, v3
	v_fmac_f32_e32 v38, 0x3f737871, v3
	;; [unrolled: 1-line block ×4, first 2 shown]
	v_add_f32_e32 v2, v28, v32
	v_add_f32_e32 v2, v2, v40
	;; [unrolled: 1-line block ×3, first 2 shown]
	v_fmac_f32_e32 v29, 0x3f167918, v50
	v_add_f32_e32 v42, v2, v53
	v_add_f32_e32 v2, v40, v49
	v_add_f32_e32 v72, v43, v29
	v_sub_f32_e32 v82, v43, v29
	v_sub_f32_e32 v4, v39, v31
	v_sub_f32_e32 v25, v48, v52
	v_fma_f32 v43, -0.5, v2, v28
	v_add_f32_e32 v4, v4, v25
	v_sub_f32_e32 v2, v31, v52
	v_mov_b32_e32 v31, v43
	v_fmac_f32_e32 v26, 0x3e9e377a, v4
	v_fmac_f32_e32 v38, 0x3e9e377a, v4
	;; [unrolled: 1-line block ×3, first 2 shown]
	v_sub_f32_e32 v3, v39, v48
	v_sub_f32_e32 v4, v32, v40
	v_sub_f32_e32 v25, v53, v49
	v_fmac_f32_e32 v43, 0x3f737871, v2
	v_fmac_f32_e32 v31, 0xbf167918, v3
	v_add_f32_e32 v4, v4, v25
	v_fmac_f32_e32 v43, 0x3f167918, v3
	v_fmac_f32_e32 v31, 0x3e9e377a, v4
	;; [unrolled: 1-line block ×3, first 2 shown]
	v_add_f32_e32 v4, v32, v53
	v_fmac_f32_e32 v28, -0.5, v4
	v_mov_b32_e32 v39, v28
	v_sub_f32_e32 v4, v40, v32
	v_sub_f32_e32 v25, v49, v53
	v_fmac_f32_e32 v28, 0xbf737871, v3
	v_add_f32_e32 v4, v4, v25
	v_fmac_f32_e32 v28, 0x3f167918, v2
	v_fmac_f32_e32 v39, 0x3f737871, v3
	;; [unrolled: 1-line block ×3, first 2 shown]
	v_mul_f32_e32 v32, 0x3f4f1bbd, v5
	v_mul_f32_e32 v3, 0x3e9e377a, v38
	;; [unrolled: 1-line block ×3, first 2 shown]
	v_fmac_f32_e32 v39, 0xbf167918, v2
	v_fmac_f32_e32 v32, 0x3f167918, v31
	v_fma_f32 v46, v28, s4, -v3
	v_mul_f32_e32 v3, 0x3f4f1bbd, v30
	v_fmac_f32_e32 v48, 0x3f4f1bbd, v31
	v_mul_f32_e32 v31, 0x3f4f1bbd, v43
	v_fmac_f32_e32 v39, 0x3e9e377a, v4
	v_add_f32_e32 v2, v10, v37
	v_fma_f32 v47, v43, s5, -v3
	v_fma_f32 v43, v30, s1, -v31
	v_sub_f32_e32 v31, v10, v37
	v_add_f32_e32 v10, v6, v56
	v_mul_f32_e32 v40, 0x3f737871, v39
	v_add_f32_e32 v10, v10, v60
	v_fmac_f32_e32 v40, 0x3e9e377a, v26
	v_mul_f32_e32 v49, 0xbf737871, v26
	v_add_f32_e32 v10, v10, v64
	v_add_f32_e32 v25, v18, v40
	v_fmac_f32_e32 v49, 0x3e9e377a, v39
	v_sub_f32_e32 v39, v18, v40
	v_add_f32_e32 v18, v10, v68
	v_add_f32_e32 v10, v60, v64
	;; [unrolled: 1-line block ×4, first 2 shown]
	v_sub_f32_e32 v37, v14, v32
	v_sub_f32_e32 v32, v19, v42
	v_fma_f32 v19, -0.5, v10, v6
	v_add_f32_e32 v30, v33, v43
	v_sub_f32_e32 v55, v33, v43
	v_sub_f32_e32 v10, v57, v69
	v_mov_b32_e32 v33, v19
	v_add_f32_e32 v27, v15, v46
	v_add_f32_e32 v29, v11, v47
	v_sub_f32_e32 v52, v15, v46
	v_sub_f32_e32 v54, v11, v47
	v_fmac_f32_e32 v33, 0x3f737871, v10
	v_sub_f32_e32 v11, v61, v65
	v_sub_f32_e32 v14, v56, v60
	;; [unrolled: 1-line block ×3, first 2 shown]
	v_fmac_f32_e32 v19, 0xbf737871, v10
	v_fmac_f32_e32 v33, 0x3f167918, v11
	v_add_f32_e32 v14, v14, v15
	v_fmac_f32_e32 v19, 0xbf167918, v11
	v_fmac_f32_e32 v33, 0x3e9e377a, v14
	;; [unrolled: 1-line block ×3, first 2 shown]
	v_add_f32_e32 v14, v56, v68
	v_mul_f32_e32 v28, 0x3e9e377a, v28
	v_fma_f32 v6, -0.5, v14, v6
	v_add_f32_e32 v5, v34, v48
	v_fma_f32 v50, v38, s0, -v28
	v_sub_f32_e32 v38, v34, v48
	v_mov_b32_e32 v34, v6
	v_fmac_f32_e32 v34, 0xbf737871, v11
	v_fmac_f32_e32 v6, 0x3f737871, v11
	;; [unrolled: 1-line block ×4, first 2 shown]
	v_add_f32_e32 v10, v7, v57
	v_add_f32_e32 v10, v10, v61
	v_add_f32_e32 v10, v10, v65
	v_add_f32_e32 v28, v35, v50
	v_sub_f32_e32 v53, v35, v50
	v_add_f32_e32 v35, v10, v69
	v_add_f32_e32 v10, v61, v65
	;; [unrolled: 1-line block ×3, first 2 shown]
	v_sub_f32_e32 v40, v41, v49
	v_sub_f32_e32 v14, v60, v56
	;; [unrolled: 1-line block ×3, first 2 shown]
	v_fma_f32 v41, -0.5, v10, v7
	v_add_f32_e32 v14, v14, v15
	v_sub_f32_e32 v10, v56, v68
	v_mov_b32_e32 v42, v41
	v_fmac_f32_e32 v34, 0x3e9e377a, v14
	v_fmac_f32_e32 v6, 0x3e9e377a, v14
	;; [unrolled: 1-line block ×3, first 2 shown]
	v_sub_f32_e32 v11, v60, v64
	v_sub_f32_e32 v14, v57, v61
	;; [unrolled: 1-line block ×3, first 2 shown]
	v_fmac_f32_e32 v41, 0x3f737871, v10
	v_fmac_f32_e32 v42, 0xbf167918, v11
	v_add_f32_e32 v14, v14, v15
	v_fmac_f32_e32 v41, 0x3f167918, v11
	v_fmac_f32_e32 v42, 0x3e9e377a, v14
	;; [unrolled: 1-line block ×3, first 2 shown]
	v_add_f32_e32 v14, v57, v69
	v_fmac_f32_e32 v7, -0.5, v14
	v_mov_b32_e32 v43, v7
	v_fmac_f32_e32 v43, 0x3f737871, v11
	v_fmac_f32_e32 v7, 0xbf737871, v11
	;; [unrolled: 1-line block ×4, first 2 shown]
	v_add_f32_e32 v10, v0, v8
	v_add_f32_e32 v10, v10, v12
	;; [unrolled: 1-line block ×3, first 2 shown]
	s_waitcnt lgkmcnt(0)
	v_add_f32_e32 v46, v10, v20
	v_add_f32_e32 v10, v12, v16
	v_sub_f32_e32 v14, v61, v57
	v_sub_f32_e32 v15, v65, v69
	v_fma_f32 v47, -0.5, v10, v0
	v_add_f32_e32 v14, v14, v15
	v_sub_f32_e32 v10, v9, v21
	v_mov_b32_e32 v11, v47
	v_fmac_f32_e32 v43, 0x3e9e377a, v14
	v_fmac_f32_e32 v7, 0x3e9e377a, v14
	v_fmac_f32_e32 v11, 0x3f737871, v10
	v_sub_f32_e32 v14, v13, v17
	v_sub_f32_e32 v15, v8, v12
	;; [unrolled: 1-line block ×3, first 2 shown]
	v_fmac_f32_e32 v47, 0xbf737871, v10
	v_fmac_f32_e32 v11, 0x3f167918, v14
	v_add_f32_e32 v15, v15, v48
	v_fmac_f32_e32 v47, 0xbf167918, v14
	v_fmac_f32_e32 v11, 0x3e9e377a, v15
	;; [unrolled: 1-line block ×3, first 2 shown]
	v_add_f32_e32 v15, v8, v20
	v_fma_f32 v0, -0.5, v15, v0
	v_mov_b32_e32 v15, v0
	v_fmac_f32_e32 v15, 0xbf737871, v14
	v_fmac_f32_e32 v0, 0x3f737871, v14
	;; [unrolled: 1-line block ×4, first 2 shown]
	v_add_f32_e32 v10, v1, v9
	v_add_f32_e32 v10, v10, v13
	;; [unrolled: 1-line block ×3, first 2 shown]
	v_sub_f32_e32 v48, v12, v8
	v_sub_f32_e32 v49, v16, v20
	v_add_f32_e32 v51, v10, v21
	v_add_f32_e32 v10, v13, v17
	;; [unrolled: 1-line block ×3, first 2 shown]
	v_fma_f32 v49, -0.5, v10, v1
	v_sub_f32_e32 v8, v8, v20
	v_mov_b32_e32 v20, v49
	v_fmac_f32_e32 v20, 0xbf737871, v8
	v_sub_f32_e32 v10, v12, v16
	v_sub_f32_e32 v12, v9, v13
	;; [unrolled: 1-line block ×3, first 2 shown]
	v_fmac_f32_e32 v49, 0x3f737871, v8
	v_fmac_f32_e32 v20, 0xbf167918, v10
	v_add_f32_e32 v12, v12, v14
	v_fmac_f32_e32 v49, 0x3f167918, v10
	v_fmac_f32_e32 v20, 0x3e9e377a, v12
	;; [unrolled: 1-line block ×3, first 2 shown]
	v_add_f32_e32 v12, v9, v21
	v_fmac_f32_e32 v1, -0.5, v12
	v_mov_b32_e32 v16, v1
	v_fmac_f32_e32 v16, 0x3f737871, v10
	v_sub_f32_e32 v9, v13, v9
	v_sub_f32_e32 v12, v17, v21
	v_fmac_f32_e32 v1, 0xbf737871, v10
	v_fmac_f32_e32 v0, 0x3e9e377a, v48
	;; [unrolled: 1-line block ×3, first 2 shown]
	v_add_f32_e32 v9, v9, v12
	v_fmac_f32_e32 v1, 0x3f167918, v8
	v_fmac_f32_e32 v16, 0x3e9e377a, v9
	;; [unrolled: 1-line block ×3, first 2 shown]
	v_mul_f32_e32 v9, 0x3e9e377a, v0
	v_fma_f32 v56, v1, s4, -v9
	v_mul_f32_e32 v9, 0x3f4f1bbd, v47
	v_mul_f32_e32 v1, 0x3e9e377a, v1
	v_fmac_f32_e32 v15, 0x3e9e377a, v48
	v_mul_f32_e32 v17, 0x3f4f1bbd, v11
	v_mul_f32_e32 v21, 0x3f737871, v16
	v_fma_f32 v57, v49, s5, -v9
	v_mul_f32_e32 v59, 0xbf167918, v11
	v_fma_f32 v0, v0, s0, -v1
	v_fmac_f32_e32 v17, 0x3f167918, v20
	v_fmac_f32_e32 v21, 0x3e9e377a, v15
	v_add_f32_e32 v48, v19, v57
	v_fmac_f32_e32 v59, 0x3f4f1bbd, v20
	v_mul_f32_e32 v20, 0xbf737871, v15
	v_add_f32_e32 v15, v7, v0
	v_sub_f32_e32 v58, v19, v57
	v_sub_f32_e32 v57, v7, v0
	v_mul_u32_u24_e32 v0, 10, v231
	v_or_b32_e32 v36, 32, v231
	v_add_lshl_u32 v123, v90, v0, 3
	v_mul_u32_u24_e32 v0, 10, v23
	v_mul_f32_e32 v1, 0x3f4f1bbd, v49
	v_add_lshl_u32 v124, v90, v0, 3
	v_mul_u32_u24_e32 v0, 10, v36
	v_add_f32_e32 v8, v18, v46
	v_add_f32_e32 v10, v33, v17
	;; [unrolled: 1-line block ×4, first 2 shown]
	v_fmac_f32_e32 v20, 0x3e9e377a, v16
	v_fma_f32 v1, v47, s1, -v1
	v_add_lshl_u32 v125, v90, v0, 3
	v_add_f32_e32 v12, v34, v21
	v_add_f32_e32 v14, v6, v56
	;; [unrolled: 1-line block ×4, first 2 shown]
	v_sub_f32_e32 v50, v18, v46
	v_sub_f32_e32 v60, v33, v17
	;; [unrolled: 1-line block ×8, first 2 shown]
	s_waitcnt lgkmcnt(0)
	; wave barrier
	ds_write_b128 v123, v[70:73]
	ds_write_b128 v123, v[74:77] offset:16
	ds_write_b128 v123, v[78:81] offset:32
	;; [unrolled: 1-line block ×4, first 2 shown]
	ds_write_b128 v124, v[2:5]
	ds_write_b128 v124, v[25:28] offset:16
	ds_write_b128 v124, v[29:32] offset:32
	;; [unrolled: 1-line block ×4, first 2 shown]
	buffer_store_dword v90, off, s[20:23], 0 ; 4-byte Folded Spill
	ds_write_b128 v125, v[8:11]
	ds_write_b128 v125, v[12:15] offset:16
	ds_write_b128 v125, v[48:51] offset:32
	ds_write_b128 v125, v[60:63] offset:48
	ds_write_b128 v125, v[56:59] offset:64
	s_waitcnt lgkmcnt(0)
	; wave barrier
	s_waitcnt lgkmcnt(0)
	ds_read2_b64 v[92:95], v232 offset0:60 offset1:76
	ds_read2_b64 v[76:79], v232 offset0:92 offset1:120
	;; [unrolled: 1-line block ×9, first 2 shown]
	ds_read2_b64 v[84:87], v24 offset1:16
	ds_read2_b64 v[80:83], v24 offset0:120 offset1:136
	ds_read_b64 v[108:109], v255
	ds_read_b64 v[110:111], v232 offset:3616
	v_cmp_gt_u64_e32 vcc, 60, v[44:45]
	v_add_co_u32_e64 v116, s[0:1], s12, v122
	v_addc_co_u32_e64 v117, s[0:1], 0, v22, s[0:1]
                                        ; implicit-def: $vgpr74
	s_and_saveexec_b64 s[0:1], vcc
	s_cbranch_execz .LBB0_3
; %bb.2:
	ds_read2_b64 v[48:51], v232 offset0:48 offset1:108
	ds_read2_b64 v[60:63], v232 offset0:168 offset1:228
	;; [unrolled: 1-line block ×4, first 2 shown]
.LBB0_3:
	s_or_b64 exec, exec, s[0:1]
	v_add_u32_e32 v0, -10, v231
	v_cmp_gt_u32_e64 s[0:1], 10, v231
	v_cndmask_b32_e64 v118, v0, v231, s[0:1]
	v_mul_i32_i24_e32 v0, 56, v118
	v_mul_hi_i32_i24_e32 v1, 56, v118
	v_mov_b32_e32 v2, s15
	v_add_co_u32_e64 v0, s[0:1], s14, v0
	v_addc_co_u32_e64 v1, s[0:1], v2, v1, s[0:1]
	v_mul_lo_u16_e32 v119, 26, v23
	v_mov_b32_e32 v4, 10
	global_load_dwordx4 v[24:27], v[0:1], off
	global_load_dwordx4 v[16:19], v[0:1], off offset:16
	global_load_dwordx4 v[12:15], v[0:1], off offset:32
	global_load_dwordx2 v[211:212], v[0:1], off offset:48
	v_mul_lo_u16_sdwa v0, v119, v4 dst_sel:DWORD dst_unused:UNUSED_PAD src0_sel:BYTE_1 src1_sel:DWORD
	v_sub_u16_e32 v120, v23, v0
	v_and_b32_e32 v0, 0xff, v120
	v_mul_lo_u16_e32 v121, 26, v36
	v_mad_u64_u32 v[0:1], s[0:1], v0, 56, s[14:15]
	v_mul_lo_u16_sdwa v2, v121, v4 dst_sel:DWORD dst_unused:UNUSED_PAD src0_sel:BYTE_1 src1_sel:DWORD
	v_sub_u16_e32 v2, v36, v2
	v_and_b32_e32 v126, 0xff, v2
	v_mad_u64_u32 v[2:3], s[0:1], v126, 56, s[14:15]
	global_load_dwordx4 v[32:35], v[0:1], off
	global_load_dwordx4 v[28:31], v[0:1], off offset:16
	global_load_dwordx4 v[20:23], v[0:1], off offset:32
	global_load_dwordx2 v[213:214], v[0:1], off offset:48
	global_load_dwordx4 v[40:43], v[2:3], off
	global_load_dwordx4 v[36:39], v[2:3], off offset:16
	v_mul_lo_u16_e32 v0, 26, v44
	buffer_store_dword v0, off, s[20:23], 0 offset:20 ; 4-byte Folded Spill
	v_mul_lo_u16_sdwa v0, v0, v4 dst_sel:DWORD dst_unused:UNUSED_PAD src0_sel:BYTE_1 src1_sel:DWORD
	v_sub_u16_e32 v0, v44, v0
	v_and_b32_e32 v0, 0xff, v0
	v_mad_u64_u32 v[8:9], s[0:1], v0, 56, s[14:15]
	buffer_store_dword v0, off, s[20:23], 0 offset:24 ; 4-byte Folded Spill
	global_load_dwordx4 v[44:47], v[2:3], off offset:32
	global_load_dwordx2 v[215:216], v[2:3], off offset:48
	global_load_dwordx2 v[209:210], v[8:9], off offset:48
	global_load_dwordx4 v[4:7], v[8:9], off offset:32
	s_nop 0
	global_load_dwordx4 v[0:3], v[8:9], off offset:16
	s_nop 0
	global_load_dwordx4 v[8:11], v[8:9], off
	v_cmp_lt_u32_e64 s[0:1], 9, v231
	s_waitcnt lgkmcnt(0)
	; wave barrier
	s_waitcnt lgkmcnt(0)
	s_movk_i32 s4, 0x50
	s_waitcnt vmcnt(17)
	v_mul_f32_e32 v113, v92, v25
	v_mul_f32_e32 v112, v93, v25
	s_waitcnt vmcnt(15)
	v_mul_f32_e32 v134, v66, v15
	s_waitcnt vmcnt(14)
	v_mul_f32_e32 v135, v97, v212
	v_mul_f32_e32 v133, v67, v15
	;; [unrolled: 1-line block ×3, first 2 shown]
	v_fmac_f32_e32 v134, v67, v14
	v_fma_f32 v67, v96, v211, -v135
	v_mul_f32_e32 v115, v78, v27
	v_mul_f32_e32 v127, v101, v17
	;; [unrolled: 1-line block ×3, first 2 shown]
	v_fmac_f32_e32 v113, v93, v24
	v_fmac_f32_e32 v136, v97, v211
	s_waitcnt vmcnt(13)
	v_mul_f32_e32 v96, v94, v33
	v_mul_f32_e32 v93, v95, v33
	;; [unrolled: 1-line block ×3, first 2 shown]
	v_fmac_f32_e32 v96, v95, v32
	s_waitcnt vmcnt(11)
	v_mul_f32_e32 v95, v81, v23
	v_mul_f32_e32 v114, v79, v27
	;; [unrolled: 1-line block ×4, first 2 shown]
	v_fmac_f32_e32 v115, v79, v26
	v_fma_f32 v79, v100, v16, -v127
	v_fmac_f32_e32 v128, v101, v16
	v_mul_f32_e32 v100, v88, v35
	v_mul_f32_e32 v101, v103, v29
	v_fma_f32 v88, v88, v34, -v97
	v_fma_f32 v95, v80, v22, -v95
	v_mul_f32_e32 v97, v80, v23
	s_waitcnt vmcnt(10)
	v_mul_f32_e32 v80, v99, v214
	v_mul_f32_e32 v129, v71, v19
	;; [unrolled: 1-line block ×3, first 2 shown]
	v_fmac_f32_e32 v130, v71, v18
	v_fma_f32 v71, v104, v12, -v131
	v_mul_f32_e32 v104, v102, v29
	v_fmac_f32_e32 v100, v89, v34
	v_fma_f32 v89, v102, v28, -v101
	v_fma_f32 v101, v98, v213, -v80
	s_waitcnt vmcnt(9)
	v_mul_f32_e32 v80, v77, v41
	v_fmac_f32_e32 v132, v105, v12
	v_mul_f32_e32 v105, v85, v31
	v_fmac_f32_e32 v104, v103, v28
	v_fma_f32 v102, v76, v40, -v80
	v_mul_f32_e32 v103, v76, v41
	v_mul_f32_e32 v76, v91, v43
	v_fma_f32 v92, v92, v24, -v112
	v_fma_f32 v78, v78, v26, -v114
	v_mul_f32_e32 v112, v84, v31
	v_mul_f32_e32 v114, v107, v21
	v_fma_f32 v93, v94, v32, -v93
	v_fma_f32 v84, v84, v30, -v105
	v_mul_f32_e32 v94, v106, v21
	v_fma_f32 v105, v90, v42, -v76
	s_waitcnt vmcnt(8)
	v_mul_f32_e32 v76, v69, v37
	v_fmac_f32_e32 v112, v85, v30
	v_fma_f32 v85, v106, v20, -v114
	v_fmac_f32_e32 v94, v107, v20
	v_fma_f32 v107, v68, v36, -v76
	v_mul_f32_e32 v114, v68, v37
	v_mul_f32_e32 v68, v87, v39
	v_fma_f32 v127, v86, v38, -v68
	s_waitcnt vmcnt(5)
	v_mul_f32_e32 v68, v65, v45
	v_fma_f32 v131, v64, v44, -v68
	s_waitcnt vmcnt(4)
	;; [unrolled: 3-line block ×3, first 2 shown]
	v_mul_f32_e32 v68, v51, v9
	v_fma_f32 v137, v50, v8, -v68
	v_mul_f32_e32 v50, v50, v9
	v_fmac_f32_e32 v50, v51, v8
	v_mul_f32_e32 v51, v61, v11
	v_fma_f32 v51, v60, v10, -v51
	v_mul_f32_e32 v60, v60, v11
	v_fmac_f32_e32 v60, v61, v10
	v_mul_f32_e32 v61, v63, v1
	v_fma_f32 v138, v62, v0, -v61
	v_mul_f32_e32 v61, v57, v3
	v_fma_f32 v61, v56, v2, -v61
	v_mul_f32_e32 v56, v56, v3
	v_mul_f32_e32 v62, v62, v1
	v_fmac_f32_e32 v56, v57, v2
	v_mul_f32_e32 v57, v59, v5
	v_fmac_f32_e32 v62, v63, v0
	v_fma_f32 v57, v58, v4, -v57
	v_mul_f32_e32 v63, v58, v5
	v_mul_f32_e32 v58, v73, v7
	v_fma_f32 v70, v70, v18, -v129
	v_fma_f32 v66, v66, v14, -v133
	v_fmac_f32_e32 v63, v59, v4
	v_fma_f32 v59, v72, v6, -v58
	v_mul_f32_e32 v58, v75, v210
	v_mul_f32_e32 v139, v72, v7
	v_fma_f32 v140, v74, v209, -v58
	v_sub_f32_e32 v58, v108, v70
	v_sub_f32_e32 v66, v78, v66
	;; [unrolled: 1-line block ×4, first 2 shown]
	v_fmac_f32_e32 v114, v69, v36
	v_fmac_f32_e32 v139, v73, v6
	v_sub_f32_e32 v68, v109, v130
	v_fma_f32 v69, v108, 2.0, -v58
	v_fma_f32 v73, v78, 2.0, -v66
	;; [unrolled: 1-line block ×4, first 2 shown]
	v_fmac_f32_e32 v97, v81, v22
	v_mul_f32_e32 v64, v64, v45
	v_mul_f32_e32 v141, v74, v210
	v_sub_f32_e32 v72, v115, v134
	v_sub_f32_e32 v81, v69, v73
	v_add_f32_e32 v66, v68, v66
	v_sub_f32_e32 v79, v76, v79
	v_mul_f32_e32 v129, v86, v39
	v_fmac_f32_e32 v64, v65, v44
	v_mul_f32_e32 v65, v83, v47
	v_mul_f32_e32 v133, v82, v47
	v_fmac_f32_e32 v141, v75, v209
	v_fma_f32 v70, v109, 2.0, -v68
	v_fma_f32 v74, v115, 2.0, -v72
	v_sub_f32_e32 v75, v113, v132
	v_fma_f32 v73, v69, 2.0, -v81
	v_fma_f32 v86, v68, 2.0, -v66
	;; [unrolled: 1-line block ×3, first 2 shown]
	v_fma_f32 v65, v82, v46, -v65
	v_fmac_f32_e32 v133, v83, v46
	v_sub_f32_e32 v78, v128, v136
	v_sub_f32_e32 v82, v70, v74
	;; [unrolled: 1-line block ×3, first 2 shown]
	v_add_f32_e32 v67, v75, v67
	v_sub_f32_e32 v68, v73, v68
	v_fmac_f32_e32 v103, v77, v40
	v_fmac_f32_e32 v129, v87, v38
	v_fma_f32 v77, v113, 2.0, -v75
	v_fma_f32 v80, v128, 2.0, -v78
	;; [unrolled: 1-line block ×4, first 2 shown]
	v_sub_f32_e32 v87, v71, v78
	v_fma_f32 v75, v75, 2.0, -v67
	v_fma_f32 v70, v73, 2.0, -v68
	v_mov_b32_e32 v73, v86
	v_sub_f32_e32 v80, v77, v80
	v_fma_f32 v76, v71, 2.0, -v87
	v_mov_b32_e32 v72, v58
	v_fmac_f32_e32 v73, 0xbf3504f3, v75
	v_fmac_f32_e32 v72, 0xbf3504f3, v76
	;; [unrolled: 1-line block ×3, first 2 shown]
	v_sub_f32_e32 v76, v81, v80
	v_fma_f32 v69, v77, 2.0, -v80
	v_fma_f32 v78, v81, 2.0, -v76
	v_mov_b32_e32 v80, v83
	v_mov_b32_e32 v81, v66
	v_mul_f32_e32 v98, v98, v214
	v_sub_f32_e32 v69, v74, v69
	v_fmac_f32_e32 v72, 0xbf3504f3, v75
	v_fmac_f32_e32 v80, 0x3f3504f3, v87
	;; [unrolled: 1-line block ×4, first 2 shown]
	v_fma_f32 v71, v74, 2.0, -v69
	v_fma_f32 v74, v58, 2.0, -v72
	v_add_f32_e32 v77, v82, v79
	v_fmac_f32_e32 v80, 0xbf3504f3, v67
	v_fmac_f32_e32 v81, 0x3f3504f3, v87
	v_sub_f32_e32 v58, v52, v84
	v_sub_f32_e32 v67, v88, v95
	;; [unrolled: 1-line block ×4, first 2 shown]
	v_mul_f32_e32 v106, v90, v43
	v_fma_f32 v75, v86, 2.0, -v73
	v_fma_f32 v79, v82, 2.0, -v77
	;; [unrolled: 1-line block ×4, first 2 shown]
	v_sub_f32_e32 v66, v53, v112
	v_fma_f32 v52, v52, 2.0, -v58
	v_sub_f32_e32 v84, v100, v97
	v_fma_f32 v86, v88, 2.0, -v67
	v_sub_f32_e32 v88, v96, v94
	v_fma_f32 v90, v93, 2.0, -v85
	v_sub_f32_e32 v93, v104, v98
	v_fma_f32 v89, v89, 2.0, -v92
	v_fmac_f32_e32 v106, v91, v42
	v_fma_f32 v53, v53, 2.0, -v66
	v_fma_f32 v87, v100, 2.0, -v84
	;; [unrolled: 1-line block ×4, first 2 shown]
	v_sub_f32_e32 v95, v52, v86
	v_sub_f32_e32 v97, v90, v89
	;; [unrolled: 1-line block ×3, first 2 shown]
	v_fma_f32 v52, v52, 2.0, -v95
	v_sub_f32_e32 v98, v58, v84
	v_sub_f32_e32 v94, v91, v94
	v_fma_f32 v84, v90, 2.0, -v97
	v_fma_f32 v53, v53, 2.0, -v96
	;; [unrolled: 1-line block ×3, first 2 shown]
	v_sub_f32_e32 v99, v85, v93
	v_sub_f32_e32 v84, v52, v84
	v_fma_f32 v90, v85, 2.0, -v99
	v_sub_f32_e32 v85, v53, v86
	v_fma_f32 v86, v52, 2.0, -v84
	v_sub_f32_e32 v52, v54, v127
	v_mov_b32_e32 v127, 0x50
	v_cndmask_b32_e64 v127, 0, v127, s[0:1]
	v_or_b32_e32 v118, v118, v127
	buffer_load_dword v127, off, s[20:23], 0 ; 4-byte Folded Reload
	v_add_f32_e32 v67, v66, v67
	v_fma_f32 v58, v58, 2.0, -v98
	v_add_f32_e32 v100, v88, v92
	v_sub_f32_e32 v92, v95, v94
	v_add_f32_e32 v93, v96, v97
	v_fma_f32 v66, v66, 2.0, -v67
	v_fma_f32 v91, v88, 2.0, -v100
	v_mov_b32_e32 v88, v58
	v_fma_f32 v94, v95, 2.0, -v92
	v_fma_f32 v95, v96, 2.0, -v93
	v_mov_b32_e32 v96, v98
	v_mul_f32_e32 v110, v110, v216
	v_fmac_f32_e32 v88, 0xbf3504f3, v90
	v_mov_b32_e32 v89, v66
	v_fmac_f32_e32 v96, 0x3f3504f3, v99
	v_mov_b32_e32 v97, v67
	v_fmac_f32_e32 v110, v111, v215
	v_fmac_f32_e32 v89, 0xbf3504f3, v91
	;; [unrolled: 1-line block ×5, first 2 shown]
	v_sub_f32_e32 v100, v102, v131
	v_sub_f32_e32 v64, v103, v64
	v_fma_f32 v87, v53, 2.0, -v85
	v_fmac_f32_e32 v89, 0x3f3504f3, v90
	v_fma_f32 v90, v58, 2.0, -v88
	v_fmac_f32_e32 v97, 0x3f3504f3, v99
	v_sub_f32_e32 v53, v55, v129
	v_sub_f32_e32 v58, v105, v65
	;; [unrolled: 1-line block ×3, first 2 shown]
	v_fma_f32 v101, v102, 2.0, -v100
	v_fma_f32 v102, v103, 2.0, -v64
	v_sub_f32_e32 v103, v107, v135
	v_sub_f32_e32 v104, v114, v110
	v_fma_f32 v91, v66, 2.0, -v89
	v_fma_f32 v99, v67, 2.0, -v97
	;; [unrolled: 1-line block ×8, first 2 shown]
	v_sub_f32_e32 v65, v52, v65
	v_add_f32_e32 v58, v53, v58
	v_sub_f32_e32 v66, v54, v66
	v_sub_f32_e32 v67, v55, v67
	v_fma_f32 v52, v52, 2.0, -v65
	v_fma_f32 v53, v53, 2.0, -v58
	v_sub_f32_e32 v109, v101, v105
	v_sub_f32_e32 v108, v102, v106
	;; [unrolled: 1-line block ×3, first 2 shown]
	v_add_f32_e32 v115, v64, v103
	v_mov_b32_e32 v113, v58
	v_fma_f32 v54, v54, 2.0, -v66
	v_fma_f32 v55, v55, 2.0, -v67
	;; [unrolled: 1-line block ×6, first 2 shown]
	v_mov_b32_e32 v104, v52
	v_mov_b32_e32 v105, v53
	;; [unrolled: 1-line block ×3, first 2 shown]
	v_fmac_f32_e32 v113, 0x3f3504f3, v115
	v_sub_f32_e32 v100, v54, v101
	v_sub_f32_e32 v101, v55, v102
	v_fmac_f32_e32 v104, 0xbf3504f3, v106
	v_fmac_f32_e32 v105, 0xbf3504f3, v64
	;; [unrolled: 1-line block ×4, first 2 shown]
	v_fma_f32 v103, v55, 2.0, -v101
	v_fmac_f32_e32 v104, 0xbf3504f3, v64
	v_fmac_f32_e32 v105, 0x3f3504f3, v106
	;; [unrolled: 1-line block ×3, first 2 shown]
	v_fma_f32 v115, v58, 2.0, -v113
	v_sub_f32_e32 v55, v48, v61
	v_sub_f32_e32 v58, v49, v56
	;; [unrolled: 1-line block ×3, first 2 shown]
	v_fma_f32 v106, v52, 2.0, -v104
	v_fma_f32 v107, v53, 2.0, -v105
	s_waitcnt vmcnt(0)
	v_add_lshl_u32 v237, v127, v118, 3
	ds_write2_b64 v237, v[70:71], v[74:75] offset1:10
	ds_write2_b64 v237, v[78:79], v[82:83] offset0:20 offset1:30
	ds_write2_b64 v237, v[68:69], v[72:73] offset0:40 offset1:50
	;; [unrolled: 1-line block ×3, first 2 shown]
	v_mul_lo_u16_sdwa v68, v119, s4 dst_sel:DWORD dst_unused:UNUSED_PAD src0_sel:BYTE_1 src1_sel:DWORD
	v_sub_f32_e32 v108, v66, v108
	v_add_f32_e32 v109, v67, v109
	v_fma_f32 v52, v48, 2.0, -v55
	v_fma_f32 v53, v49, 2.0, -v58
	v_sub_f32_e32 v48, v51, v59
	v_sub_f32_e32 v49, v60, v139
	v_sub_f32_e32 v61, v137, v57
	v_fma_f32 v56, v50, 2.0, -v63
	v_sub_f32_e32 v50, v138, v140
	v_or_b32_e32 v68, v68, v120
	v_fma_f32 v102, v54, 2.0, -v100
	v_fma_f32 v110, v66, 2.0, -v108
	;; [unrolled: 1-line block ×7, first 2 shown]
	v_sub_f32_e32 v65, v62, v141
	v_fma_f32 v67, v138, 2.0, -v50
	v_sub_f32_e32 v64, v55, v49
	v_add_f32_e32 v66, v58, v48
	v_and_b32_e32 v68, 0xff, v68
	v_fma_f32 v62, v62, 2.0, -v65
	v_sub_f32_e32 v57, v52, v51
	v_sub_f32_e32 v60, v53, v59
	v_sub_f32_e32 v59, v54, v67
	v_sub_f32_e32 v65, v61, v65
	v_add_f32_e32 v67, v63, v50
	v_mov_b32_e32 v50, v64
	v_mov_b32_e32 v51, v66
	v_add_lshl_u32 v238, v127, v68, 3
	v_mul_u32_u24_sdwa v68, v121, s4 dst_sel:DWORD dst_unused:UNUSED_PAD src0_sel:BYTE_1 src1_sel:DWORD
	v_sub_f32_e32 v62, v56, v62
	v_fmac_f32_e32 v50, 0x3f3504f3, v65
	v_fmac_f32_e32 v51, 0x3f3504f3, v67
	v_or_b32_e32 v68, v68, v126
	v_sub_f32_e32 v48, v57, v62
	v_add_f32_e32 v49, v60, v59
	v_fmac_f32_e32 v50, 0xbf3504f3, v67
	v_fmac_f32_e32 v51, 0x3f3504f3, v65
	v_add_lshl_u32 v239, v127, v68, 3
	v_fma_f32 v98, v98, 2.0, -v96
	ds_write2_b64 v238, v[86:87], v[90:91] offset1:10
	ds_write2_b64 v238, v[94:95], v[98:99] offset0:20 offset1:30
	ds_write2_b64 v238, v[84:85], v[88:89] offset0:40 offset1:50
	;; [unrolled: 1-line block ×3, first 2 shown]
	ds_write2_b64 v239, v[102:103], v[106:107] offset1:10
	ds_write2_b64 v239, v[110:111], v[114:115] offset0:20 offset1:30
	ds_write2_b64 v239, v[100:101], v[104:105] offset0:40 offset1:50
	;; [unrolled: 1-line block ×3, first 2 shown]
	s_and_saveexec_b64 s[0:1], vcc
	s_cbranch_execz .LBB0_5
; %bb.4:
	v_fma_f32 v55, v55, 2.0, -v64
	v_fma_f32 v61, v61, 2.0, -v65
	v_mov_b32_e32 v65, v55
	v_fma_f32 v63, v63, 2.0, -v67
	v_fmac_f32_e32 v65, 0xbf3504f3, v61
	v_fmac_f32_e32 v65, 0xbf3504f3, v63
	v_fma_f32 v72, v55, 2.0, -v65
	v_fma_f32 v55, v53, 2.0, -v60
	;; [unrolled: 1-line block ×5, first 2 shown]
	v_sub_f32_e32 v52, v56, v52
	v_fma_f32 v54, v56, 2.0, -v52
	buffer_load_dword v56, off, s[20:23], 0 offset:20 ; 4-byte Folded Reload
	v_fma_f32 v70, v57, 2.0, -v48
	buffer_load_dword v57, off, s[20:23], 0 offset:24 ; 4-byte Folded Reload
	v_fma_f32 v58, v58, 2.0, -v66
	v_fma_f32 v69, v66, 2.0, -v51
	v_mov_b32_e32 v66, v58
	v_fmac_f32_e32 v66, 0xbf3504f3, v63
	v_fmac_f32_e32 v66, 0x3f3504f3, v61
	v_sub_f32_e32 v53, v55, v53
	v_fma_f32 v73, v58, 2.0, -v66
	v_fma_f32 v55, v55, 2.0, -v53
	;; [unrolled: 1-line block ×4, first 2 shown]
	s_waitcnt vmcnt(1)
	v_mul_u32_u24_sdwa v56, v56, s4 dst_sel:DWORD dst_unused:UNUSED_PAD src0_sel:BYTE_1 src1_sel:DWORD
	s_waitcnt vmcnt(0)
	v_or_b32_e32 v56, v56, v57
	buffer_load_dword v57, off, s[20:23], 0 ; 4-byte Folded Reload
	s_waitcnt vmcnt(0)
	v_add_lshl_u32 v56, v57, v56, 3
	ds_write2_b64 v56, v[54:55], v[72:73] offset1:10
	ds_write2_b64 v56, v[70:71], v[68:69] offset0:20 offset1:30
	ds_write2_b64 v56, v[52:53], v[65:66] offset0:40 offset1:50
	;; [unrolled: 1-line block ×3, first 2 shown]
.LBB0_5:
	s_or_b64 exec, exec, s[0:1]
	v_mad_u64_u32 v[90:91], s[4:5], v231, 40, s[14:15]
	v_add_u32_e32 v126, 0x400, v232
	v_add_u32_e32 v240, 0x800, v232
	s_waitcnt lgkmcnt(0)
	; wave barrier
	s_waitcnt lgkmcnt(0)
	ds_read_b64 v[118:119], v255
	ds_read2_b64 v[64:67], v232 offset0:80 offset1:96
	ds_read2_b64 v[108:111], v232 offset0:144 offset1:160
	;; [unrolled: 1-line block ×14, first 2 shown]
	ds_read_b64 v[120:121], v232 offset:3712
	global_load_dwordx2 v[217:218], v[90:91], off offset:592
	global_load_dwordx4 v[52:55], v[90:91], off offset:576
	global_load_dwordx4 v[60:63], v[90:91], off offset:560
	s_add_u32 s0, s12, 0xf00
	s_addc_u32 s1, s13, 0
	s_waitcnt vmcnt(2) lgkmcnt(10)
	v_mul_f32_e32 v132, v74, v218
	s_waitcnt vmcnt(1)
	v_mul_f32_e32 v130, v70, v53
	s_waitcnt vmcnt(0)
	v_mul_f32_e32 v56, v65, v61
	v_fma_f32 v127, v64, v60, -v56
	v_mul_f32_e32 v56, v111, v63
	v_fma_f32 v134, v110, v62, -v56
	v_mul_f32_e32 v136, v110, v63
	v_mul_f32_e32 v56, v71, v53
	v_fmac_f32_e32 v136, v111, v62
	v_fma_f32 v111, v70, v52, -v56
	v_mul_f32_e32 v56, v103, v55
	v_fma_f32 v140, v102, v54, -v56
	v_mul_f32_e32 v56, v75, v218
	v_fmac_f32_e32 v130, v71, v52
	v_fma_f32 v131, v74, v217, -v56
	global_load_dwordx2 v[219:220], v[90:91], off offset:1232
	global_load_dwordx4 v[56:59], v[90:91], off offset:1216
	global_load_dwordx4 v[68:71], v[90:91], off offset:1200
	v_mul_f32_e32 v128, v64, v61
	v_mul_f32_e32 v143, v102, v55
	v_fmac_f32_e32 v143, v103, v54
	v_fmac_f32_e32 v128, v65, v60
	;; [unrolled: 1-line block ×3, first 2 shown]
	s_waitcnt vmcnt(2)
	v_mul_f32_e32 v141, v76, v220
	v_fmac_f32_e32 v141, v77, v219
	s_waitcnt vmcnt(0)
	v_mul_f32_e32 v64, v67, v69
	v_fma_f32 v102, v66, v68, -v64
	s_waitcnt lgkmcnt(8)
	v_mul_f32_e32 v64, v79, v71
	v_fma_f32 v144, v78, v70, -v64
	v_mul_f32_e32 v64, v73, v57
	v_fma_f32 v133, v72, v56, -v64
	s_waitcnt lgkmcnt(7)
	v_mul_f32_e32 v64, v83, v59
	v_mul_f32_e32 v103, v66, v69
	;; [unrolled: 1-line block ×3, first 2 shown]
	v_fma_f32 v147, v82, v58, -v64
	v_mul_f32_e32 v64, v77, v220
	v_fmac_f32_e32 v103, v67, v68
	v_fmac_f32_e32 v146, v79, v70
	v_fma_f32 v138, v76, v219, -v64
	global_load_dwordx2 v[221:222], v[90:91], off offset:1872
	global_load_dwordx4 v[64:67], v[90:91], off offset:1856
	global_load_dwordx4 v[76:79], v[90:91], off offset:1840
	v_mul_f32_e32 v135, v72, v57
	v_mul_f32_e32 v148, v82, v59
	v_fmac_f32_e32 v135, v73, v56
	v_fmac_f32_e32 v148, v83, v58
	s_waitcnt vmcnt(1) lgkmcnt(5)
	v_mul_f32_e32 v145, v223, v65
	s_waitcnt vmcnt(0)
	v_mul_f32_e32 v72, v87, v77
	v_fma_f32 v110, v86, v76, -v72
	v_mul_f32_e32 v72, v81, v79
	v_fma_f32 v149, v80, v78, -v72
	;; [unrolled: 2-line block ×3, first 2 shown]
	v_mul_f32_e32 v72, v85, v67
	v_mul_f32_e32 v150, v80, v79
	v_fma_f32 v151, v84, v66, -v72
	s_waitcnt lgkmcnt(4)
	v_mul_f32_e32 v72, v228, v222
	v_fmac_f32_e32 v150, v81, v78
	v_fmac_f32_e32 v145, v224, v64
	v_fma_f32 v153, v227, v221, -v72
	global_load_dwordx2 v[223:224], v[90:91], off offset:2512
	global_load_dwordx4 v[72:75], v[90:91], off offset:2496
	global_load_dwordx4 v[80:83], v[90:91], off offset:2480
	v_mul_f32_e32 v152, v84, v67
	v_mul_f32_e32 v227, v227, v222
	v_fmac_f32_e32 v227, v228, v221
	v_mul_f32_e32 v129, v86, v77
	v_fmac_f32_e32 v129, v87, v76
	v_fmac_f32_e32 v152, v85, v66
	s_waitcnt vmcnt(1)
	v_mul_f32_e32 v235, v225, v73
	s_waitcnt vmcnt(0)
	v_mul_f32_e32 v84, v89, v81
	v_fma_f32 v137, v88, v80, -v84
	s_waitcnt lgkmcnt(2)
	v_mul_f32_e32 v84, v113, v83
	v_fma_f32 v228, v112, v82, -v84
	v_mul_f32_e32 v84, v226, v73
	v_fma_f32 v234, v225, v72, -v84
	s_waitcnt lgkmcnt(1)
	v_mul_f32_e32 v84, v105, v75
	v_mul_f32_e32 v139, v88, v81
	v_fma_f32 v236, v104, v74, -v84
	v_mul_f32_e32 v84, v230, v224
	v_fmac_f32_e32 v139, v89, v80
	v_fmac_f32_e32 v235, v226, v72
	v_fma_f32 v242, v229, v223, -v84
	global_load_dwordx2 v[225:226], v[90:91], off offset:3152
	global_load_dwordx4 v[84:87], v[90:91], off offset:3136
	s_nop 0
	global_load_dwordx4 v[88:91], v[90:91], off offset:3120
	v_mul_f32_e32 v241, v104, v75
	v_mul_f32_e32 v229, v229, v224
	v_fmac_f32_e32 v229, v230, v223
	v_mul_f32_e32 v233, v112, v83
	v_fmac_f32_e32 v233, v113, v82
	v_fmac_f32_e32 v241, v105, v74
	s_waitcnt vmcnt(2) lgkmcnt(0)
	v_mul_f32_e32 v250, v120, v226
	s_waitcnt vmcnt(1)
	v_mul_f32_e32 v246, v100, v85
	s_waitcnt vmcnt(0)
	v_mul_f32_e32 v104, v109, v89
	v_fma_f32 v230, v108, v88, -v104
	v_mul_f32_e32 v104, v115, v91
	v_fma_f32 v244, v114, v90, -v104
	v_mul_f32_e32 v245, v114, v91
	v_mul_f32_e32 v104, v101, v85
	v_fmac_f32_e32 v245, v115, v90
	v_fma_f32 v115, v100, v84, -v104
	v_mul_f32_e32 v100, v107, v87
	v_fma_f32 v247, v106, v86, -v100
	v_mul_f32_e32 v100, v121, v226
	v_fma_f32 v249, v120, v225, -v100
	v_add_f32_e32 v100, v118, v134
	v_mul_f32_e32 v243, v108, v89
	v_add_f32_e32 v108, v100, v140
	v_add_f32_e32 v100, v134, v140
	v_fmac_f32_e32 v243, v109, v88
	v_fma_f32 v109, -0.5, v100, v118
	v_sub_f32_e32 v100, v136, v143
	v_mov_b32_e32 v112, v109
	v_fmac_f32_e32 v112, 0x3f5db3d7, v100
	v_fmac_f32_e32 v109, 0xbf5db3d7, v100
	v_add_f32_e32 v100, v119, v136
	v_add_f32_e32 v114, v100, v143
	;; [unrolled: 1-line block ×3, first 2 shown]
	v_fmac_f32_e32 v119, -0.5, v100
	v_sub_f32_e32 v100, v134, v140
	v_mov_b32_e32 v118, v119
	v_fmac_f32_e32 v118, 0xbf5db3d7, v100
	v_fmac_f32_e32 v119, 0x3f5db3d7, v100
	v_add_f32_e32 v100, v127, v111
	v_add_f32_e32 v113, v100, v131
	;; [unrolled: 1-line block ×3, first 2 shown]
	v_fmac_f32_e32 v127, -0.5, v100
	v_sub_f32_e32 v100, v130, v132
	v_mov_b32_e32 v105, v127
	v_fmac_f32_e32 v105, 0x3f5db3d7, v100
	v_fmac_f32_e32 v127, 0xbf5db3d7, v100
	v_add_f32_e32 v100, v128, v130
	v_add_f32_e32 v120, v100, v132
	;; [unrolled: 1-line block ×3, first 2 shown]
	v_mul_f32_e32 v248, v106, v87
	v_fmac_f32_e32 v128, -0.5, v100
	v_fmac_f32_e32 v248, v107, v86
	v_sub_f32_e32 v100, v111, v131
	v_mov_b32_e32 v107, v128
	v_fmac_f32_e32 v107, 0xbf5db3d7, v100
	v_mul_f32_e32 v111, 0x3f5db3d7, v107
	v_mul_f32_e32 v130, 0xbf5db3d7, v105
	v_fmac_f32_e32 v250, v121, v225
	v_fmac_f32_e32 v128, 0x3f5db3d7, v100
	v_fmac_f32_e32 v111, 0.5, v105
	v_mul_f32_e32 v121, -0.5, v127
	v_fmac_f32_e32 v130, 0.5, v107
	v_add_f32_e32 v104, v112, v111
	v_fmac_f32_e32 v121, 0x3f5db3d7, v128
	v_add_f32_e32 v105, v118, v130
	v_mul_f32_e32 v128, -0.5, v128
	v_sub_f32_e32 v111, v112, v111
	v_sub_f32_e32 v112, v118, v130
	v_add_f32_e32 v118, v96, v144
	v_fmac_f32_e32 v128, 0xbf5db3d7, v127
	v_add_f32_e32 v127, v118, v147
	v_add_f32_e32 v118, v144, v147
	v_fmac_f32_e32 v246, v101, v84
	v_add_f32_e32 v100, v108, v113
	v_add_f32_e32 v106, v109, v121
	;; [unrolled: 1-line block ×4, first 2 shown]
	v_sub_f32_e32 v108, v108, v113
	v_sub_f32_e32 v113, v109, v121
	;; [unrolled: 1-line block ×4, first 2 shown]
	v_fma_f32 v128, -0.5, v118, v96
	v_sub_f32_e32 v96, v146, v148
	v_mov_b32_e32 v130, v128
	v_fmac_f32_e32 v130, 0x3f5db3d7, v96
	v_fmac_f32_e32 v128, 0xbf5db3d7, v96
	v_add_f32_e32 v96, v97, v146
	v_add_f32_e32 v131, v96, v148
	;; [unrolled: 1-line block ×3, first 2 shown]
	v_fma_f32 v132, -0.5, v96, v97
	v_sub_f32_e32 v96, v144, v147
	v_mov_b32_e32 v134, v132
	v_fmac_f32_e32 v134, 0xbf5db3d7, v96
	v_fmac_f32_e32 v132, 0x3f5db3d7, v96
	v_add_f32_e32 v96, v102, v133
	v_add_f32_e32 v136, v96, v138
	;; [unrolled: 1-line block ×3, first 2 shown]
	v_fmac_f32_e32 v102, -0.5, v96
	v_sub_f32_e32 v96, v135, v141
	v_mov_b32_e32 v119, v102
	v_fmac_f32_e32 v119, 0x3f5db3d7, v96
	v_fmac_f32_e32 v102, 0xbf5db3d7, v96
	v_add_f32_e32 v96, v103, v135
	v_add_f32_e32 v140, v96, v141
	;; [unrolled: 1-line block ×3, first 2 shown]
	v_fmac_f32_e32 v103, -0.5, v96
	v_sub_f32_e32 v96, v133, v138
	v_mov_b32_e32 v121, v103
	v_fmac_f32_e32 v103, 0x3f5db3d7, v96
	v_mul_f32_e32 v141, -0.5, v103
	v_fmac_f32_e32 v121, 0xbf5db3d7, v96
	v_mul_f32_e32 v135, -0.5, v102
	v_mul_f32_e32 v138, 0xbf5db3d7, v119
	v_fmac_f32_e32 v141, 0xbf5db3d7, v102
	v_mul_f32_e32 v133, 0x3f5db3d7, v121
	v_fmac_f32_e32 v135, 0x3f5db3d7, v103
	v_add_f32_e32 v97, v131, v140
	v_fmac_f32_e32 v138, 0.5, v121
	v_add_f32_e32 v121, v132, v141
	v_sub_f32_e32 v103, v131, v140
	v_sub_f32_e32 v131, v132, v141
	v_add_f32_e32 v132, v98, v149
	v_add_f32_e32 v96, v127, v136
	v_sub_f32_e32 v102, v127, v136
	v_add_f32_e32 v136, v132, v151
	v_add_f32_e32 v132, v149, v151
	v_fmac_f32_e32 v133, 0.5, v119
	v_fma_f32 v98, -0.5, v132, v98
	v_add_f32_e32 v118, v130, v133
	v_add_f32_e32 v120, v128, v135
	;; [unrolled: 1-line block ×3, first 2 shown]
	v_sub_f32_e32 v127, v130, v133
	v_sub_f32_e32 v130, v128, v135
	;; [unrolled: 1-line block ×4, first 2 shown]
	v_mov_b32_e32 v138, v98
	v_fmac_f32_e32 v138, 0x3f5db3d7, v132
	v_fmac_f32_e32 v98, 0xbf5db3d7, v132
	v_add_f32_e32 v132, v99, v150
	v_add_f32_e32 v143, v132, v152
	v_add_f32_e32 v132, v150, v152
	v_fmac_f32_e32 v99, -0.5, v132
	v_sub_f32_e32 v132, v149, v151
	v_mov_b32_e32 v146, v99
	v_fmac_f32_e32 v146, 0xbf5db3d7, v132
	v_fmac_f32_e32 v99, 0x3f5db3d7, v132
	v_add_f32_e32 v132, v110, v142
	v_add_f32_e32 v144, v132, v153
	v_add_f32_e32 v132, v142, v153
	v_fmac_f32_e32 v110, -0.5, v132
	v_sub_f32_e32 v132, v145, v227
	;; [unrolled: 8-line block ×3, first 2 shown]
	v_mov_b32_e32 v141, v129
	v_fmac_f32_e32 v129, 0x3f5db3d7, v132
	v_mul_f32_e32 v148, -0.5, v110
	v_fmac_f32_e32 v148, 0x3f5db3d7, v129
	v_mul_f32_e32 v129, -0.5, v129
	v_fmac_f32_e32 v141, 0xbf5db3d7, v132
	v_mul_f32_e32 v149, 0xbf5db3d7, v135
	v_fmac_f32_e32 v129, 0xbf5db3d7, v110
	v_mul_f32_e32 v145, 0x3f5db3d7, v141
	v_fmac_f32_e32 v149, 0.5, v141
	v_add_f32_e32 v141, v99, v129
	v_sub_f32_e32 v99, v99, v129
	v_add_f32_e32 v129, v228, v236
	v_fma_f32 v129, -0.5, v129, v92
	v_add_f32_e32 v140, v98, v148
	v_sub_f32_e32 v98, v98, v148
	v_add_f32_e32 v110, v92, v228
	v_sub_f32_e32 v92, v233, v241
	v_mov_b32_e32 v148, v129
	v_fmac_f32_e32 v145, 0.5, v135
	v_fmac_f32_e32 v148, 0x3f5db3d7, v92
	v_fmac_f32_e32 v129, 0xbf5db3d7, v92
	v_add_f32_e32 v92, v93, v233
	v_add_f32_e32 v132, v136, v144
	;; [unrolled: 1-line block ×4, first 2 shown]
	v_sub_f32_e32 v142, v136, v144
	v_sub_f32_e32 v144, v138, v145
	;; [unrolled: 1-line block ×3, first 2 shown]
	v_add_f32_e32 v149, v92, v241
	v_add_f32_e32 v92, v233, v241
	v_fma_f32 v151, -0.5, v92, v93
	v_sub_f32_e32 v92, v228, v236
	v_mov_b32_e32 v152, v151
	v_fmac_f32_e32 v152, 0xbf5db3d7, v92
	v_fmac_f32_e32 v151, 0x3f5db3d7, v92
	v_add_f32_e32 v92, v137, v234
	v_add_f32_e32 v138, v92, v242
	;; [unrolled: 1-line block ×3, first 2 shown]
	v_fmac_f32_e32 v137, -0.5, v92
	v_add_f32_e32 v133, v143, v147
	v_sub_f32_e32 v143, v143, v147
	v_sub_f32_e32 v92, v235, v229
	v_mov_b32_e32 v147, v137
	v_fmac_f32_e32 v147, 0x3f5db3d7, v92
	v_fmac_f32_e32 v137, 0xbf5db3d7, v92
	v_add_f32_e32 v92, v139, v235
	v_add_f32_e32 v153, v92, v229
	;; [unrolled: 1-line block ×3, first 2 shown]
	v_fmac_f32_e32 v139, -0.5, v92
	v_sub_f32_e32 v92, v234, v242
	v_mov_b32_e32 v150, v139
	v_fmac_f32_e32 v139, 0x3f5db3d7, v92
	v_mul_f32_e32 v228, -0.5, v137
	v_fmac_f32_e32 v150, 0xbf5db3d7, v92
	v_fmac_f32_e32 v228, 0x3f5db3d7, v139
	v_mul_f32_e32 v229, 0xbf5db3d7, v147
	v_add_f32_e32 v110, v110, v236
	v_mul_f32_e32 v227, 0x3f5db3d7, v150
	v_add_f32_e32 v136, v129, v228
	v_fmac_f32_e32 v229, 0.5, v150
	v_sub_f32_e32 v150, v129, v228
	v_add_f32_e32 v129, v244, v247
	v_add_f32_e32 v92, v110, v138
	v_sub_f32_e32 v138, v110, v138
	v_add_f32_e32 v110, v94, v244
	v_fma_f32 v94, -0.5, v129, v94
	v_fmac_f32_e32 v227, 0.5, v147
	v_add_f32_e32 v93, v149, v153
	v_add_f32_e32 v147, v152, v229
	v_mul_f32_e32 v233, -0.5, v139
	v_sub_f32_e32 v139, v149, v153
	v_sub_f32_e32 v149, v152, v229
	;; [unrolled: 1-line block ×3, first 2 shown]
	v_mov_b32_e32 v234, v94
	v_add_f32_e32 v152, v245, v248
	v_fmac_f32_e32 v234, 0x3f5db3d7, v129
	v_fmac_f32_e32 v94, 0xbf5db3d7, v129
	v_add_f32_e32 v129, v95, v245
	v_fmac_f32_e32 v95, -0.5, v152
	v_sub_f32_e32 v152, v244, v247
	v_mov_b32_e32 v236, v95
	v_fmac_f32_e32 v233, 0xbf5db3d7, v137
	v_fmac_f32_e32 v236, 0xbf5db3d7, v152
	;; [unrolled: 1-line block ×3, first 2 shown]
	v_add_f32_e32 v152, v230, v115
	v_add_f32_e32 v137, v151, v233
	v_sub_f32_e32 v151, v151, v233
	v_add_f32_e32 v233, v152, v249
	v_add_f32_e32 v152, v115, v249
	v_fmac_f32_e32 v230, -0.5, v152
	v_sub_f32_e32 v152, v246, v250
	v_mov_b32_e32 v228, v230
	v_fmac_f32_e32 v228, 0x3f5db3d7, v152
	v_fmac_f32_e32 v230, 0xbf5db3d7, v152
	v_add_f32_e32 v152, v243, v246
	v_add_f32_e32 v241, v152, v250
	;; [unrolled: 1-line block ×3, first 2 shown]
	v_fmac_f32_e32 v243, -0.5, v152
	v_sub_f32_e32 v115, v115, v249
	v_mov_b32_e32 v235, v243
	v_fmac_f32_e32 v243, 0x3f5db3d7, v115
	v_mul_f32_e32 v242, -0.5, v230
	v_fmac_f32_e32 v235, 0xbf5db3d7, v115
	v_fmac_f32_e32 v242, 0x3f5db3d7, v243
	v_mul_f32_e32 v243, -0.5, v243
	v_mul_f32_e32 v115, 0x3f5db3d7, v235
	v_mul_f32_e32 v244, 0xbf5db3d7, v228
	v_fmac_f32_e32 v243, 0xbf5db3d7, v230
	v_add_f32_e32 v110, v110, v247
	v_add_f32_e32 v129, v129, v248
	v_fmac_f32_e32 v115, 0.5, v228
	v_add_f32_e32 v229, v94, v242
	v_fmac_f32_e32 v244, 0.5, v235
	v_add_f32_e32 v230, v95, v243
	v_sub_f32_e32 v94, v94, v242
	v_sub_f32_e32 v95, v95, v243
	v_add_f32_e32 v146, v148, v227
	v_sub_f32_e32 v148, v148, v227
	v_add_f32_e32 v152, v110, v233
	v_add_f32_e32 v227, v234, v115
	;; [unrolled: 1-line block ×4, first 2 shown]
	v_sub_f32_e32 v233, v110, v233
	v_sub_f32_e32 v235, v234, v115
	;; [unrolled: 1-line block ×4, first 2 shown]
	ds_write_b64 v255, v[100:101]
	ds_write2_b64 v232, v[104:105], v[118:119] offset0:80 offset1:96
	ds_write2_b64 v126, v[108:109], v[102:103] offset0:112 offset1:128
	;; [unrolled: 1-line block ×14, first 2 shown]
	ds_write_b64 v232, v[94:95] offset:3712
	s_waitcnt lgkmcnt(0)
	; wave barrier
	s_waitcnt lgkmcnt(0)
	global_load_dwordx2 v[94:95], v[116:117], off offset:3840
	ds_read_b64 v[92:93], v255
	s_waitcnt vmcnt(0) lgkmcnt(0)
	v_mul_f32_e32 v96, v93, v95
	v_mul_f32_e32 v97, v92, v95
	v_fma_f32 v96, v92, v94, -v96
	v_fmac_f32_e32 v97, v93, v94
	ds_write_b64 v255, v[96:97]
	global_load_dwordx2 v[96:97], v122, s[0:1] offset:384
	ds_read2_b64 v[92:95], v232 offset0:48 offset1:64
	ds_read2_b64 v[108:111], v240 offset0:16 offset1:32
	;; [unrolled: 1-line block ×4, first 2 shown]
	s_waitcnt vmcnt(0) lgkmcnt(3)
	v_mul_f32_e32 v98, v93, v97
	v_mul_f32_e32 v121, v92, v97
	v_fma_f32 v120, v92, v96, -v98
	v_fmac_f32_e32 v121, v93, v96
	global_load_dwordx2 v[92:93], v122, s[0:1] offset:768
	ds_read2_b64 v[96:99], v232 offset0:80 offset1:96
	s_waitcnt vmcnt(0) lgkmcnt(0)
	v_mul_f32_e32 v100, v99, v93
	v_mul_f32_e32 v132, v98, v93
	v_fma_f32 v131, v98, v92, -v100
	v_fmac_f32_e32 v132, v99, v92
	global_load_dwordx2 v[92:93], v122, s[0:1] offset:1152
	ds_read2_b64 v[98:101], v232 offset0:144 offset1:160
	;; [unrolled: 7-line block ×4, first 2 shown]
	s_waitcnt vmcnt(0) lgkmcnt(0)
	v_mul_f32_e32 v98, v105, v93
	v_mul_f32_e32 v138, v104, v93
	v_fma_f32 v137, v104, v92, -v98
	v_fmac_f32_e32 v138, v105, v92
	global_load_dwordx2 v[92:93], v122, s[0:1] offset:2304
	s_waitcnt vmcnt(0)
	v_mul_f32_e32 v98, v111, v93
	v_mul_f32_e32 v140, v110, v93
	v_fma_f32 v139, v110, v92, -v98
	v_fmac_f32_e32 v140, v111, v92
	global_load_dwordx2 v[92:93], v122, s[0:1] offset:2688
	ds_read2_b64 v[110:113], v240 offset0:80 offset1:96
	s_waitcnt vmcnt(0) lgkmcnt(0)
	v_mul_f32_e32 v98, v111, v93
	v_mul_f32_e32 v142, v110, v93
	v_fma_f32 v141, v110, v92, -v98
	v_fmac_f32_e32 v142, v111, v92
	global_load_dwordx2 v[92:93], v122, s[0:1] offset:3072
	s_waitcnt vmcnt(0)
	v_mul_f32_e32 v98, v117, v93
	v_mul_f32_e32 v144, v116, v93
	v_fma_f32 v143, v116, v92, -v98
	v_fmac_f32_e32 v144, v117, v92
	global_load_dwordx2 v[92:93], v122, s[0:1] offset:3456
	ds_read2_b64 v[116:119], v240 offset0:176 offset1:192
	s_waitcnt vmcnt(0) lgkmcnt(0)
	v_mul_f32_e32 v98, v117, v93
	v_mul_f32_e32 v146, v116, v93
	v_fma_f32 v145, v116, v92, -v98
	v_fmac_f32_e32 v146, v117, v92
	global_load_dwordx2 v[92:93], v122, s[0:1] offset:128
	s_waitcnt vmcnt(0)
	v_mul_f32_e32 v98, v128, v93
	v_mul_f32_e32 v117, v127, v93
	v_fma_f32 v116, v127, v92, -v98
	v_fmac_f32_e32 v117, v128, v92
	global_load_dwordx2 v[92:93], v122, s[0:1] offset:512
	s_waitcnt vmcnt(0)
	v_mul_f32_e32 v98, v95, v93
	v_mul_f32_e32 v99, v94, v93
	v_fma_f32 v98, v94, v92, -v98
	v_fmac_f32_e32 v99, v95, v92
	ds_write2_b64 v232, v[120:121], v[98:99] offset0:48 offset1:64
	global_load_dwordx2 v[98:99], v122, s[0:1] offset:896
	ds_read2_b64 v[92:95], v232 offset0:112 offset1:128
	s_waitcnt vmcnt(0) lgkmcnt(0)
	v_mul_f32_e32 v104, v93, v99
	v_mul_f32_e32 v121, v92, v99
	v_fma_f32 v120, v92, v98, -v104
	v_fmac_f32_e32 v121, v93, v98
	global_load_dwordx2 v[92:93], v122, s[0:1] offset:1280
	s_waitcnt vmcnt(0)
	v_mul_f32_e32 v98, v101, v93
	v_mul_f32_e32 v99, v100, v93
	v_fma_f32 v98, v100, v92, -v98
	v_fmac_f32_e32 v99, v101, v92
	global_load_dwordx2 v[92:93], v122, s[0:1] offset:1664
	ds_write2_b64 v232, v[133:134], v[98:99] offset0:144 offset1:160
	ds_read2_b64 v[98:101], v232 offset0:208 offset1:224
	s_waitcnt vmcnt(0) lgkmcnt(0)
	v_mul_f32_e32 v104, v99, v93
	v_mul_f32_e32 v128, v98, v93
	v_fma_f32 v127, v98, v92, -v104
	v_fmac_f32_e32 v128, v99, v92
	global_load_dwordx2 v[92:93], v122, s[0:1] offset:2048
	s_waitcnt vmcnt(0)
	v_mul_f32_e32 v98, v107, v93
	v_mul_f32_e32 v99, v106, v93
	v_fma_f32 v98, v106, v92, -v98
	v_fmac_f32_e32 v99, v107, v92
	global_load_dwordx2 v[92:93], v122, s[0:1] offset:2432
	ds_read2_b64 v[104:107], v240 offset0:48 offset1:64
	ds_write2_b64 v126, v[137:138], v[98:99] offset0:112 offset1:128
	s_waitcnt vmcnt(0) lgkmcnt(1)
	v_mul_f32_e32 v98, v105, v93
	v_mul_f32_e32 v99, v104, v93
	v_fma_f32 v98, v104, v92, -v98
	v_fmac_f32_e32 v99, v105, v92
	global_load_dwordx2 v[92:93], v122, s[0:1] offset:2816
	s_waitcnt vmcnt(0)
	v_mul_f32_e32 v104, v113, v93
	v_mul_f32_e32 v105, v112, v93
	v_fma_f32 v104, v112, v92, -v104
	v_fmac_f32_e32 v105, v113, v92
	global_load_dwordx2 v[92:93], v122, s[0:1] offset:3200
	ds_read2_b64 v[110:113], v240 offset0:144 offset1:160
	ds_write2_b64 v240, v[141:142], v[104:105] offset0:80 offset1:96
	s_waitcnt vmcnt(0) lgkmcnt(1)
	v_mul_f32_e32 v104, v111, v93
	v_mul_f32_e32 v105, v110, v93
	v_fma_f32 v104, v110, v92, -v104
	v_fmac_f32_e32 v105, v111, v92
	global_load_dwordx2 v[92:93], v122, s[0:1] offset:3584
	s_waitcnt vmcnt(0)
	v_mul_f32_e32 v110, v119, v93
	v_mul_f32_e32 v111, v118, v93
	v_fma_f32 v110, v118, v92, -v110
	v_fmac_f32_e32 v111, v119, v92
	global_load_dwordx2 v[92:93], v122, s[0:1] offset:256
	ds_write2_b64 v240, v[145:146], v[110:111] offset0:176 offset1:192
	s_waitcnt vmcnt(0)
	v_mul_f32_e32 v110, v130, v93
	v_mul_f32_e32 v111, v129, v93
	v_fma_f32 v110, v129, v92, -v110
	v_fmac_f32_e32 v111, v130, v92
	global_load_dwordx2 v[92:93], v122, s[0:1] offset:640
	ds_write2_b64 v232, v[116:117], v[110:111] offset0:16 offset1:32
	;; [unrolled: 7-line block ×9, first 2 shown]
	s_waitcnt vmcnt(0)
	v_mul_f32_e32 v94, v113, v93
	v_mul_f32_e32 v95, v112, v93
	v_fma_f32 v94, v112, v92, -v94
	v_fmac_f32_e32 v95, v113, v92
	ds_write2_b64 v240, v[104:105], v[94:95] offset0:144 offset1:160
	global_load_dwordx2 v[94:95], v122, s[0:1] offset:3712
	ds_read_b64 v[92:93], v232 offset:3712
	s_waitcnt vmcnt(0) lgkmcnt(0)
	v_mul_f32_e32 v96, v93, v95
	v_mul_f32_e32 v97, v92, v95
	v_fma_f32 v96, v92, v94, -v96
	v_fmac_f32_e32 v97, v93, v94
	ds_write_b64 v232, v[96:97] offset:3712
	s_waitcnt lgkmcnt(0)
	; wave barrier
	s_waitcnt lgkmcnt(0)
	ds_read_b64 v[150:151], v255
	ds_read2_b64 v[114:117], v232 offset0:48 offset1:64
	ds_read2_b64 v[92:95], v232 offset0:80 offset1:96
	;; [unrolled: 1-line block ×14, first 2 shown]
	ds_read_b64 v[112:113], v232 offset:3712
	s_waitcnt lgkmcnt(9)
	v_add_f32_e32 v146, v102, v106
	v_fma_f32 v147, -0.5, v146, v150
	s_waitcnt lgkmcnt(7)
	v_sub_f32_e32 v146, v95, v111
	v_mov_b32_e32 v148, v147
	v_fmac_f32_e32 v148, 0xbf737871, v146
	v_sub_f32_e32 v149, v103, v107
	v_sub_f32_e32 v152, v94, v102
	;; [unrolled: 1-line block ×3, first 2 shown]
	v_fmac_f32_e32 v147, 0x3f737871, v146
	v_fmac_f32_e32 v148, 0xbf167918, v149
	v_add_f32_e32 v152, v152, v153
	v_fmac_f32_e32 v147, 0x3f167918, v149
	v_fmac_f32_e32 v148, 0x3e9e377a, v152
	;; [unrolled: 1-line block ×3, first 2 shown]
	v_add_f32_e32 v152, v94, v110
	v_add_f32_e32 v122, v150, v94
	v_fma_f32 v150, -0.5, v152, v150
	v_mov_b32_e32 v152, v150
	v_fmac_f32_e32 v152, 0x3f737871, v149
	v_fmac_f32_e32 v150, 0xbf737871, v149
	;; [unrolled: 1-line block ×4, first 2 shown]
	v_add_f32_e32 v146, v151, v95
	v_add_f32_e32 v146, v146, v103
	v_sub_f32_e32 v153, v102, v94
	v_sub_f32_e32 v233, v106, v110
	v_add_f32_e32 v146, v146, v107
	v_add_f32_e32 v122, v122, v102
	v_add_f32_e32 v153, v153, v233
	v_add_f32_e32 v149, v146, v111
	v_add_f32_e32 v146, v103, v107
	v_add_f32_e32 v122, v122, v106
	v_fmac_f32_e32 v152, 0x3e9e377a, v153
	v_fmac_f32_e32 v150, 0x3e9e377a, v153
	v_fma_f32 v153, -0.5, v146, v151
	v_add_f32_e32 v122, v122, v110
	v_sub_f32_e32 v94, v94, v110
	v_mov_b32_e32 v110, v153
	v_fmac_f32_e32 v110, 0x3f737871, v94
	v_sub_f32_e32 v102, v102, v106
	v_sub_f32_e32 v106, v95, v103
	;; [unrolled: 1-line block ×3, first 2 shown]
	v_fmac_f32_e32 v153, 0xbf737871, v94
	v_fmac_f32_e32 v110, 0x3f167918, v102
	v_add_f32_e32 v106, v106, v146
	v_fmac_f32_e32 v153, 0xbf167918, v102
	v_fmac_f32_e32 v110, 0x3e9e377a, v106
	;; [unrolled: 1-line block ×3, first 2 shown]
	v_add_f32_e32 v106, v95, v111
	v_fmac_f32_e32 v151, -0.5, v106
	v_mov_b32_e32 v106, v151
	v_fmac_f32_e32 v106, 0xbf737871, v102
	v_sub_f32_e32 v95, v103, v95
	v_sub_f32_e32 v103, v107, v111
	v_fmac_f32_e32 v151, 0x3f737871, v102
	v_fmac_f32_e32 v106, 0x3f167918, v94
	v_add_f32_e32 v95, v95, v103
	v_fmac_f32_e32 v151, 0xbf167918, v94
	v_fmac_f32_e32 v106, 0x3e9e377a, v95
	;; [unrolled: 1-line block ×3, first 2 shown]
	v_add_f32_e32 v95, v126, v130
	v_fma_f32 v95, -0.5, v95, v114
	s_waitcnt lgkmcnt(6)
	v_sub_f32_e32 v102, v119, v135
	v_mov_b32_e32 v103, v95
	v_fmac_f32_e32 v103, 0xbf737871, v102
	v_sub_f32_e32 v107, v127, v131
	v_sub_f32_e32 v111, v118, v126
	;; [unrolled: 1-line block ×3, first 2 shown]
	v_fmac_f32_e32 v95, 0x3f737871, v102
	v_fmac_f32_e32 v103, 0xbf167918, v107
	v_add_f32_e32 v111, v111, v146
	v_fmac_f32_e32 v95, 0x3f167918, v107
	v_fmac_f32_e32 v103, 0x3e9e377a, v111
	v_fmac_f32_e32 v95, 0x3e9e377a, v111
	v_add_f32_e32 v111, v118, v134
	v_fma_f32 v111, -0.5, v111, v114
	v_add_f32_e32 v94, v114, v118
	v_mov_b32_e32 v114, v111
	v_add_f32_e32 v94, v94, v126
	v_fmac_f32_e32 v114, 0x3f737871, v107
	v_fmac_f32_e32 v111, 0xbf737871, v107
	v_add_f32_e32 v107, v127, v131
	v_add_f32_e32 v94, v94, v130
	v_sub_f32_e32 v146, v126, v118
	v_sub_f32_e32 v233, v130, v134
	v_fma_f32 v107, -0.5, v107, v115
	v_add_f32_e32 v94, v94, v134
	v_fmac_f32_e32 v114, 0xbf167918, v102
	v_add_f32_e32 v146, v146, v233
	v_fmac_f32_e32 v111, 0x3f167918, v102
	v_sub_f32_e32 v118, v118, v134
	v_mov_b32_e32 v134, v107
	v_fmac_f32_e32 v114, 0x3e9e377a, v146
	v_fmac_f32_e32 v111, 0x3e9e377a, v146
	;; [unrolled: 1-line block ×3, first 2 shown]
	v_sub_f32_e32 v126, v126, v130
	v_sub_f32_e32 v130, v119, v127
	;; [unrolled: 1-line block ×3, first 2 shown]
	v_fmac_f32_e32 v107, 0xbf737871, v118
	v_fmac_f32_e32 v134, 0x3f167918, v126
	v_add_f32_e32 v130, v130, v146
	v_fmac_f32_e32 v107, 0xbf167918, v126
	v_fmac_f32_e32 v134, 0x3e9e377a, v130
	;; [unrolled: 1-line block ×3, first 2 shown]
	v_add_f32_e32 v130, v119, v135
	v_add_f32_e32 v102, v115, v119
	v_fma_f32 v115, -0.5, v130, v115
	v_mov_b32_e32 v130, v115
	v_add_f32_e32 v102, v102, v127
	v_fmac_f32_e32 v130, 0xbf737871, v126
	v_sub_f32_e32 v119, v127, v119
	v_sub_f32_e32 v127, v131, v135
	v_fmac_f32_e32 v130, 0x3f167918, v118
	v_add_f32_e32 v119, v119, v127
	v_fmac_f32_e32 v115, 0x3f737871, v126
	v_fmac_f32_e32 v130, 0x3e9e377a, v119
	;; [unrolled: 1-line block ×3, first 2 shown]
	v_mul_f32_e32 v118, 0xbf167918, v134
	v_mul_f32_e32 v127, 0xbf167918, v107
	v_mul_f32_e32 v107, 0xbf4f1bbd, v107
	v_add_f32_e32 v102, v102, v131
	v_fmac_f32_e32 v115, 0x3e9e377a, v119
	v_fmac_f32_e32 v118, 0x3f4f1bbd, v103
	v_mul_f32_e32 v119, 0xbf737871, v130
	v_fmac_f32_e32 v127, 0xbf4f1bbd, v95
	v_mul_f32_e32 v103, 0x3f167918, v103
	v_fmac_f32_e32 v107, 0x3f167918, v95
	s_waitcnt lgkmcnt(2)
	v_add_f32_e32 v95, v142, v227
	v_add_f32_e32 v102, v102, v135
	v_fmac_f32_e32 v119, 0x3e9e377a, v114
	v_fmac_f32_e32 v103, 0x3f4f1bbd, v134
	v_mul_f32_e32 v130, 0x3e9e377a, v130
	v_fma_f32 v95, -0.5, v95, v96
	v_add_f32_e32 v247, v148, v118
	v_add_f32_e32 v249, v152, v119
	;; [unrolled: 1-line block ×5, first 2 shown]
	v_fmac_f32_e32 v130, 0x3f737871, v114
	v_sub_f32_e32 v146, v148, v118
	v_sub_f32_e32 v148, v152, v119
	v_sub_f32_e32 v152, v147, v127
	v_sub_f32_e32 v236, v149, v102
	v_sub_f32_e32 v147, v110, v103
	s_waitcnt lgkmcnt(1)
	v_sub_f32_e32 v102, v139, v242
	v_mov_b32_e32 v103, v95
	v_add_f32_e32 v250, v106, v130
	v_add_f32_e32 v234, v153, v107
	v_sub_f32_e32 v149, v106, v130
	v_sub_f32_e32 v153, v153, v107
	v_fmac_f32_e32 v103, 0xbf737871, v102
	v_sub_f32_e32 v106, v143, v228
	v_sub_f32_e32 v107, v138, v142
	;; [unrolled: 1-line block ×3, first 2 shown]
	v_fmac_f32_e32 v95, 0x3f737871, v102
	v_fmac_f32_e32 v103, 0xbf167918, v106
	v_add_f32_e32 v107, v107, v110
	v_fmac_f32_e32 v95, 0x3f167918, v106
	v_fmac_f32_e32 v103, 0x3e9e377a, v107
	v_fmac_f32_e32 v95, 0x3e9e377a, v107
	v_add_f32_e32 v107, v138, v241
	v_add_f32_e32 v245, v122, v94
	v_sub_f32_e32 v235, v122, v94
	v_add_f32_e32 v94, v96, v138
	v_fma_f32 v96, -0.5, v107, v96
	v_mul_f32_e32 v126, 0xbf737871, v115
	v_mul_f32_e32 v114, 0xbe9e377a, v115
	v_mov_b32_e32 v107, v96
	v_fmac_f32_e32 v126, 0xbe9e377a, v111
	v_fmac_f32_e32 v114, 0x3f737871, v111
	;; [unrolled: 1-line block ×3, first 2 shown]
	v_sub_f32_e32 v110, v142, v138
	v_sub_f32_e32 v111, v227, v241
	v_fmac_f32_e32 v96, 0xbf737871, v106
	v_add_f32_e32 v106, v143, v228
	v_fmac_f32_e32 v107, 0xbf167918, v102
	v_add_f32_e32 v110, v110, v111
	v_fmac_f32_e32 v96, 0x3f167918, v102
	v_fma_f32 v106, -0.5, v106, v97
	v_fmac_f32_e32 v107, 0x3e9e377a, v110
	v_fmac_f32_e32 v96, 0x3e9e377a, v110
	v_sub_f32_e32 v110, v138, v241
	v_mov_b32_e32 v111, v106
	v_add_f32_e32 v252, v151, v114
	v_sub_f32_e32 v151, v151, v114
	v_fmac_f32_e32 v111, 0x3f737871, v110
	v_sub_f32_e32 v114, v142, v227
	v_sub_f32_e32 v115, v139, v143
	v_sub_f32_e32 v118, v242, v228
	v_fmac_f32_e32 v106, 0xbf737871, v110
	v_fmac_f32_e32 v111, 0x3f167918, v114
	v_add_f32_e32 v115, v115, v118
	v_fmac_f32_e32 v106, 0xbf167918, v114
	v_fmac_f32_e32 v111, 0x3e9e377a, v115
	;; [unrolled: 1-line block ×3, first 2 shown]
	v_add_f32_e32 v115, v139, v242
	v_add_f32_e32 v102, v97, v139
	v_fma_f32 v97, -0.5, v115, v97
	v_mov_b32_e32 v122, v97
	v_fmac_f32_e32 v122, 0xbf737871, v114
	v_sub_f32_e32 v115, v143, v139
	v_sub_f32_e32 v118, v228, v242
	v_fmac_f32_e32 v97, 0x3f737871, v114
	v_add_f32_e32 v114, v128, v132
	v_fmac_f32_e32 v122, 0x3f167918, v110
	v_add_f32_e32 v115, v115, v118
	v_fmac_f32_e32 v97, 0xbf167918, v110
	v_fma_f32 v127, -0.5, v114, v116
	v_fmac_f32_e32 v122, 0x3e9e377a, v115
	v_fmac_f32_e32 v97, 0x3e9e377a, v115
	v_sub_f32_e32 v114, v121, v137
	v_mov_b32_e32 v115, v127
	v_add_f32_e32 v251, v150, v126
	v_sub_f32_e32 v150, v150, v126
	v_fmac_f32_e32 v115, 0xbf737871, v114
	v_sub_f32_e32 v118, v129, v133
	v_sub_f32_e32 v119, v120, v128
	;; [unrolled: 1-line block ×3, first 2 shown]
	v_fmac_f32_e32 v127, 0x3f737871, v114
	v_fmac_f32_e32 v115, 0xbf167918, v118
	v_add_f32_e32 v119, v119, v126
	v_fmac_f32_e32 v127, 0x3f167918, v118
	v_fmac_f32_e32 v115, 0x3e9e377a, v119
	;; [unrolled: 1-line block ×3, first 2 shown]
	v_add_f32_e32 v119, v120, v136
	v_fma_f32 v130, -0.5, v119, v116
	v_mov_b32_e32 v131, v130
	v_fmac_f32_e32 v131, 0x3f737871, v118
	v_fmac_f32_e32 v130, 0xbf737871, v118
	;; [unrolled: 1-line block ×4, first 2 shown]
	v_add_f32_e32 v114, v117, v121
	v_add_f32_e32 v114, v114, v129
	;; [unrolled: 1-line block ×8, first 2 shown]
	v_sub_f32_e32 v116, v128, v120
	v_sub_f32_e32 v119, v132, v136
	v_fma_f32 v134, -0.5, v114, v117
	v_add_f32_e32 v110, v110, v136
	v_add_f32_e32 v116, v116, v119
	v_sub_f32_e32 v114, v120, v136
	v_mov_b32_e32 v136, v134
	v_fmac_f32_e32 v131, 0x3e9e377a, v116
	v_fmac_f32_e32 v130, 0x3e9e377a, v116
	;; [unrolled: 1-line block ×3, first 2 shown]
	v_sub_f32_e32 v116, v128, v132
	v_sub_f32_e32 v118, v121, v129
	v_sub_f32_e32 v119, v137, v133
	v_fmac_f32_e32 v134, 0xbf737871, v114
	v_fmac_f32_e32 v136, 0x3f167918, v116
	v_add_f32_e32 v118, v118, v119
	v_fmac_f32_e32 v134, 0xbf167918, v116
	v_fmac_f32_e32 v136, 0x3e9e377a, v118
	;; [unrolled: 1-line block ×3, first 2 shown]
	v_add_f32_e32 v118, v121, v137
	v_fmac_f32_e32 v117, -0.5, v118
	v_mov_b32_e32 v128, v117
	v_sub_f32_e32 v118, v129, v121
	v_sub_f32_e32 v119, v133, v137
	v_fmac_f32_e32 v117, 0x3f737871, v116
	v_add_f32_e32 v118, v118, v119
	v_fmac_f32_e32 v117, 0xbf167918, v114
	v_mul_f32_e32 v137, 0xbf167918, v134
	v_add_f32_e32 v102, v102, v143
	v_fmac_f32_e32 v117, 0x3e9e377a, v118
	v_fmac_f32_e32 v137, 0xbf4f1bbd, v127
	v_mul_f32_e32 v138, 0x3f167918, v115
	v_add_f32_e32 v94, v94, v142
	v_add_f32_e32 v102, v102, v228
	v_mul_f32_e32 v129, 0xbf167918, v136
	v_mul_f32_e32 v133, 0xbf737871, v117
	v_add_f32_e32 v126, v95, v137
	v_fmac_f32_e32 v138, 0x3f4f1bbd, v136
	v_mul_f32_e32 v142, 0xbe9e377a, v117
	v_sub_f32_e32 v136, v95, v137
	v_add_f32_e32 v95, v144, v229
	v_add_f32_e32 v102, v102, v242
	v_fmac_f32_e32 v129, 0x3f4f1bbd, v115
	v_fmac_f32_e32 v133, 0xbe9e377a, v130
	v_fmac_f32_e32 v142, 0x3f737871, v130
	v_mul_f32_e32 v143, 0xbf4f1bbd, v134
	v_fma_f32 v95, -0.5, v95, v98
	v_fmac_f32_e32 v128, 0xbf737871, v116
	v_add_f32_e32 v120, v103, v129
	v_add_f32_e32 v116, v96, v133
	;; [unrolled: 1-line block ×4, first 2 shown]
	v_fmac_f32_e32 v143, 0x3f167918, v127
	v_sub_f32_e32 v130, v103, v129
	v_sub_f32_e32 v134, v96, v133
	;; [unrolled: 1-line block ×5, first 2 shown]
	v_mov_b32_e32 v97, v95
	v_add_f32_e32 v127, v106, v143
	v_sub_f32_e32 v137, v106, v143
	v_fmac_f32_e32 v97, 0xbf737871, v96
	v_sub_f32_e32 v102, v145, v230
	v_sub_f32_e32 v103, v140, v144
	v_sub_f32_e32 v106, v243, v229
	v_fmac_f32_e32 v95, 0x3f737871, v96
	v_add_f32_e32 v94, v94, v227
	v_fmac_f32_e32 v128, 0x3f167918, v114
	v_fmac_f32_e32 v97, 0xbf167918, v102
	v_add_f32_e32 v103, v103, v106
	v_fmac_f32_e32 v95, 0x3f167918, v102
	v_add_f32_e32 v94, v94, v241
	v_fmac_f32_e32 v128, 0x3e9e377a, v118
	v_fmac_f32_e32 v97, 0x3e9e377a, v103
	;; [unrolled: 1-line block ×3, first 2 shown]
	v_add_f32_e32 v103, v140, v243
	v_add_f32_e32 v118, v94, v110
	v_mul_f32_e32 v132, 0xbf737871, v128
	v_mul_f32_e32 v139, 0x3e9e377a, v128
	v_sub_f32_e32 v128, v94, v110
	v_add_f32_e32 v94, v98, v140
	v_fma_f32 v98, -0.5, v103, v98
	v_mov_b32_e32 v103, v98
	v_fmac_f32_e32 v103, 0x3f737871, v102
	v_fmac_f32_e32 v98, 0xbf737871, v102
	;; [unrolled: 1-line block ×4, first 2 shown]
	v_add_f32_e32 v96, v99, v141
	v_add_f32_e32 v96, v96, v145
	v_fmac_f32_e32 v139, 0x3f737871, v131
	v_add_f32_e32 v96, v96, v230
	v_fmac_f32_e32 v132, 0x3e9e377a, v131
	v_add_f32_e32 v115, v122, v139
	v_sub_f32_e32 v133, v122, v139
	v_add_f32_e32 v122, v96, v244
	v_add_f32_e32 v96, v145, v230
	;; [unrolled: 1-line block ×4, first 2 shown]
	v_sub_f32_e32 v132, v107, v132
	v_sub_f32_e32 v131, v111, v138
	v_sub_f32_e32 v106, v144, v140
	v_sub_f32_e32 v107, v229, v243
	v_fma_f32 v138, -0.5, v96, v99
	v_add_f32_e32 v106, v106, v107
	v_sub_f32_e32 v96, v140, v243
	v_mov_b32_e32 v139, v138
	v_fmac_f32_e32 v103, 0x3e9e377a, v106
	v_fmac_f32_e32 v98, 0x3e9e377a, v106
	v_fmac_f32_e32 v139, 0x3f737871, v96
	v_sub_f32_e32 v102, v144, v229
	v_sub_f32_e32 v106, v141, v145
	;; [unrolled: 1-line block ×3, first 2 shown]
	v_fmac_f32_e32 v138, 0xbf737871, v96
	v_fmac_f32_e32 v139, 0x3f167918, v102
	v_add_f32_e32 v106, v106, v107
	v_fmac_f32_e32 v138, 0xbf167918, v102
	v_fmac_f32_e32 v139, 0x3e9e377a, v106
	;; [unrolled: 1-line block ×3, first 2 shown]
	v_add_f32_e32 v106, v141, v244
	v_fmac_f32_e32 v99, -0.5, v106
	v_mov_b32_e32 v140, v99
	v_fmac_f32_e32 v140, 0xbf737871, v102
	v_sub_f32_e32 v106, v145, v141
	v_sub_f32_e32 v107, v230, v244
	v_fmac_f32_e32 v99, 0x3f737871, v102
	v_add_f32_e32 v102, v104, v108
	v_fmac_f32_e32 v140, 0x3f167918, v96
	v_add_f32_e32 v106, v106, v107
	v_fmac_f32_e32 v99, 0xbf167918, v96
	v_fma_f32 v102, -0.5, v102, v92
	v_fmac_f32_e32 v140, 0x3e9e377a, v106
	v_fmac_f32_e32 v99, 0x3e9e377a, v106
	s_waitcnt lgkmcnt(0)
	v_sub_f32_e32 v106, v101, v113
	v_mov_b32_e32 v107, v102
	v_fmac_f32_e32 v107, 0xbf737871, v106
	v_sub_f32_e32 v110, v105, v109
	v_sub_f32_e32 v111, v100, v104
	;; [unrolled: 1-line block ×3, first 2 shown]
	v_fmac_f32_e32 v102, 0x3f737871, v106
	v_fmac_f32_e32 v107, 0xbf167918, v110
	v_add_f32_e32 v111, v111, v141
	v_fmac_f32_e32 v102, 0x3f167918, v110
	v_fmac_f32_e32 v107, 0x3e9e377a, v111
	;; [unrolled: 1-line block ×3, first 2 shown]
	v_add_f32_e32 v111, v100, v112
	v_fma_f32 v111, -0.5, v111, v92
	v_mov_b32_e32 v141, v111
	v_add_f32_e32 v96, v92, v100
	v_fmac_f32_e32 v141, 0x3f737871, v110
	v_sub_f32_e32 v92, v104, v100
	v_sub_f32_e32 v142, v108, v112
	v_fmac_f32_e32 v111, 0xbf737871, v110
	v_fmac_f32_e32 v141, 0xbf167918, v106
	v_add_f32_e32 v92, v92, v142
	v_fmac_f32_e32 v111, 0x3f167918, v106
	v_fmac_f32_e32 v141, 0x3e9e377a, v92
	;; [unrolled: 1-line block ×3, first 2 shown]
	v_add_f32_e32 v92, v93, v101
	v_add_f32_e32 v92, v92, v105
	;; [unrolled: 1-line block ×5, first 2 shown]
	v_fma_f32 v143, -0.5, v92, v93
	v_add_f32_e32 v96, v96, v104
	v_sub_f32_e32 v92, v100, v112
	v_mov_b32_e32 v100, v143
	v_add_f32_e32 v96, v96, v108
	v_fmac_f32_e32 v100, 0x3f737871, v92
	v_sub_f32_e32 v104, v104, v108
	v_sub_f32_e32 v106, v101, v105
	;; [unrolled: 1-line block ×3, first 2 shown]
	v_fmac_f32_e32 v143, 0xbf737871, v92
	v_fmac_f32_e32 v100, 0x3f167918, v104
	v_add_f32_e32 v106, v106, v108
	v_fmac_f32_e32 v143, 0xbf167918, v104
	v_fmac_f32_e32 v100, 0x3e9e377a, v106
	;; [unrolled: 1-line block ×3, first 2 shown]
	v_add_f32_e32 v106, v101, v113
	v_fmac_f32_e32 v93, -0.5, v106
	v_add_f32_e32 v96, v96, v112
	v_mov_b32_e32 v112, v93
	v_fmac_f32_e32 v112, 0xbf737871, v104
	v_sub_f32_e32 v101, v105, v101
	v_sub_f32_e32 v105, v109, v113
	v_fmac_f32_e32 v112, 0x3f167918, v92
	v_add_f32_e32 v101, v101, v105
	v_fmac_f32_e32 v93, 0x3f737871, v104
	v_fmac_f32_e32 v112, 0x3e9e377a, v101
	;; [unrolled: 1-line block ×3, first 2 shown]
	v_add_f32_e32 v94, v94, v144
	v_fmac_f32_e32 v93, 0x3e9e377a, v101
	v_mul_f32_e32 v113, 0xbf737871, v112
	v_mul_f32_e32 v112, 0x3e9e377a, v112
	v_add_f32_e32 v94, v94, v229
	v_mul_f32_e32 v101, 0xbf167918, v100
	v_fmac_f32_e32 v113, 0x3e9e377a, v141
	v_mul_f32_e32 v144, 0xbf737871, v93
	v_mul_f32_e32 v227, 0x3f167918, v107
	v_fmac_f32_e32 v112, 0x3f737871, v141
	v_mul_f32_e32 v141, 0xbe9e377a, v93
	v_add_f32_e32 v94, v94, v243
	v_fmac_f32_e32 v101, 0x3f4f1bbd, v107
	v_fmac_f32_e32 v144, 0xbe9e377a, v111
	v_mul_f32_e32 v145, 0xbf167918, v143
	v_fmac_f32_e32 v227, 0x3f4f1bbd, v100
	v_fmac_f32_e32 v141, 0x3f737871, v111
	v_mul_f32_e32 v143, 0xbf4f1bbd, v143
	v_add_f32_e32 v104, v94, v96
	v_add_f32_e32 v106, v97, v101
	;; [unrolled: 1-line block ×4, first 2 shown]
	v_fmac_f32_e32 v145, 0xbf4f1bbd, v102
	v_add_f32_e32 v105, v122, v142
	v_add_f32_e32 v107, v139, v227
	;; [unrolled: 1-line block ×4, first 2 shown]
	v_fmac_f32_e32 v143, 0x3f167918, v102
	v_add_f32_e32 v92, v95, v145
	v_add_f32_e32 v93, v138, v143
	v_sub_f32_e32 v94, v94, v96
	v_sub_f32_e32 v100, v97, v101
	;; [unrolled: 1-line block ×10, first 2 shown]
	s_waitcnt lgkmcnt(0)
	; wave barrier
	ds_write_b128 v123, v[245:248]
	ds_write_b128 v123, v[249:252] offset:16
	ds_write_b128 v123, v[233:236] offset:32
	ds_write_b128 v123, v[146:149] offset:48
	ds_write_b128 v123, v[150:153] offset:64
	ds_write_b128 v124, v[118:121]
	ds_write_b128 v124, v[114:117] offset:16
	ds_write_b128 v124, v[126:129] offset:32
	ds_write_b128 v124, v[130:133] offset:48
	ds_write_b128 v124, v[134:137] offset:64
	ds_write_b128 v125, v[104:107]
	ds_write_b128 v125, v[108:111] offset:16
	ds_write_b128 v125, v[92:95] offset:32
	ds_write_b128 v125, v[100:103] offset:48
	ds_write_b128 v125, v[96:99] offset:64
	s_waitcnt lgkmcnt(0)
	; wave barrier
	s_waitcnt lgkmcnt(0)
	ds_read_b64 v[227:228], v255
	ds_read2_b64 v[144:147], v232 offset0:60 offset1:76
	ds_read2_b64 v[116:119], v232 offset0:92 offset1:120
	ds_read2_b64 v[140:143], v232 offset0:180 offset1:196
	ds_read2_b64 v[112:115], v232 offset0:212 offset1:240
	ds_read2_b64 v[136:139], v240 offset0:44 offset1:60
	ds_read2_b64 v[108:111], v240 offset0:76 offset1:104
	ds_read2_b64 v[132:135], v240 offset0:164 offset1:180
	ds_read2_b64 v[104:107], v232 offset0:16 offset1:32
	ds_read2_b64 v[128:131], v232 offset0:136 offset1:152
	ds_read2_b64 v[124:127], v240 offset1:16
	ds_read2_b64 v[120:123], v240 offset0:120 offset1:136
	ds_read_b64 v[229:230], v232 offset:3616
	s_and_saveexec_b64 s[0:1], vcc
	s_cbranch_execz .LBB0_7
; %bb.6:
	ds_read2_b64 v[92:95], v232 offset0:48 offset1:108
	ds_read2_b64 v[100:103], v232 offset0:168 offset1:228
	;; [unrolled: 1-line block ×4, first 2 shown]
.LBB0_7:
	s_or_b64 exec, exec, s[0:1]
	s_waitcnt lgkmcnt(11)
	v_mul_f32_e32 v148, v25, v145
	v_mul_f32_e32 v25, v25, v144
	v_fmac_f32_e32 v148, v24, v144
	v_fma_f32 v24, v24, v145, -v25
	s_waitcnt lgkmcnt(10)
	v_mul_f32_e32 v25, v27, v119
	v_mul_f32_e32 v27, v27, v118
	v_fmac_f32_e32 v25, v26, v118
	v_fma_f32 v26, v26, v119, -v27
	s_waitcnt lgkmcnt(9)
	v_mul_f32_e32 v27, v17, v141
	v_mul_f32_e32 v17, v17, v140
	v_fmac_f32_e32 v27, v16, v140
	v_fma_f32 v16, v16, v141, -v17
	s_waitcnt lgkmcnt(8)
	v_mul_f32_e32 v17, v19, v115
	v_mul_f32_e32 v19, v19, v114
	v_fmac_f32_e32 v17, v18, v114
	v_fma_f32 v18, v18, v115, -v19
	s_waitcnt lgkmcnt(7)
	v_mul_f32_e32 v19, v13, v137
	v_mul_f32_e32 v13, v13, v136
	v_fmac_f32_e32 v19, v12, v136
	v_fma_f32 v12, v12, v137, -v13
	s_waitcnt lgkmcnt(6)
	v_mul_f32_e32 v13, v15, v111
	v_mul_f32_e32 v15, v15, v110
	v_fmac_f32_e32 v13, v14, v110
	v_fma_f32 v14, v14, v111, -v15
	v_mul_f32_e32 v111, v33, v147
	v_mul_f32_e32 v33, v33, v146
	v_fmac_f32_e32 v111, v32, v146
	v_fma_f32 v32, v32, v147, -v33
	s_waitcnt lgkmcnt(3)
	v_mul_f32_e32 v33, v35, v129
	v_mul_f32_e32 v35, v35, v128
	v_fmac_f32_e32 v33, v34, v128
	v_fma_f32 v34, v34, v129, -v35
	v_mul_f32_e32 v35, v29, v143
	v_mul_f32_e32 v29, v29, v142
	v_fmac_f32_e32 v35, v28, v142
	v_fma_f32 v28, v28, v143, -v29
	s_waitcnt lgkmcnt(2)
	v_mul_f32_e32 v29, v31, v125
	v_mul_f32_e32 v31, v31, v124
	v_fmac_f32_e32 v29, v30, v124
	v_fma_f32 v30, v30, v125, -v31
	v_mul_f32_e32 v31, v21, v139
	v_mul_f32_e32 v21, v21, v138
	v_fmac_f32_e32 v31, v20, v138
	v_fma_f32 v114, v20, v139, -v21
	s_waitcnt lgkmcnt(1)
	v_mul_f32_e32 v20, v23, v120
	v_mul_f32_e32 v115, v23, v121
	v_fma_f32 v118, v22, v121, -v20
	v_mul_f32_e32 v20, v214, v134
	v_fmac_f32_e32 v115, v22, v120
	v_fma_f32 v120, v213, v135, -v20
	v_mul_f32_e32 v121, v41, v117
	v_mul_f32_e32 v20, v41, v116
	v_fmac_f32_e32 v121, v40, v116
	v_fma_f32 v116, v40, v117, -v20
	v_mul_f32_e32 v20, v43, v130
	v_fma_f32 v124, v42, v131, -v20
	v_mul_f32_e32 v125, v37, v113
	v_mul_f32_e32 v20, v37, v112
	;; [unrolled: 1-line block ×3, first 2 shown]
	v_fmac_f32_e32 v125, v36, v112
	v_fma_f32 v112, v36, v113, -v20
	v_mul_f32_e32 v113, v39, v127
	v_mul_f32_e32 v20, v39, v126
	;; [unrolled: 1-line block ×3, first 2 shown]
	v_fma_f32 v110, v211, v133, -v110
	v_fmac_f32_e32 v113, v38, v126
	v_fma_f32 v126, v38, v127, -v20
	v_mul_f32_e32 v127, v45, v109
	v_mul_f32_e32 v20, v45, v108
	v_sub_f32_e32 v17, v227, v17
	v_sub_f32_e32 v14, v26, v14
	v_fmac_f32_e32 v15, v211, v132
	v_fmac_f32_e32 v127, v44, v108
	v_fma_f32 v44, v44, v109, -v20
	v_mul_f32_e32 v45, v47, v123
	v_mul_f32_e32 v20, v47, v122
	v_sub_f32_e32 v18, v228, v18
	v_sub_f32_e32 v13, v25, v13
	v_fma_f32 v23, v26, 2.0, -v14
	v_sub_f32_e32 v19, v148, v19
	v_sub_f32_e32 v12, v24, v12
	;; [unrolled: 1-line block ×3, first 2 shown]
	v_add_f32_e32 v36, v17, v14
	v_fmac_f32_e32 v45, v46, v122
	v_fma_f32 v46, v46, v123, -v20
	s_waitcnt lgkmcnt(0)
	v_mul_f32_e32 v20, v216, v229
	v_fma_f32 v24, v24, 2.0, -v12
	v_sub_f32_e32 v15, v27, v15
	v_fma_f32 v16, v16, 2.0, -v26
	v_sub_f32_e32 v37, v18, v13
	v_fma_f32 v38, v17, 2.0, -v36
	v_add_f32_e32 v26, v19, v26
	v_fma_f32 v108, v215, v230, -v20
	v_fma_f32 v20, v227, 2.0, -v17
	v_fma_f32 v21, v228, 2.0, -v18
	;; [unrolled: 1-line block ×6, first 2 shown]
	v_sub_f32_e32 v40, v24, v16
	v_sub_f32_e32 v41, v12, v15
	v_fma_f32 v18, v19, 2.0, -v26
	v_mov_b32_e32 v16, v38
	v_mul_f32_e32 v119, v214, v135
	v_sub_f32_e32 v22, v20, v22
	v_sub_f32_e32 v27, v25, v27
	v_fma_f32 v14, v24, 2.0, -v40
	v_fma_f32 v19, v12, 2.0, -v41
	v_fmac_f32_e32 v16, 0xbf3504f3, v18
	v_mov_b32_e32 v17, v39
	v_mov_b32_e32 v24, v36
	v_fmac_f32_e32 v119, v213, v134
	v_mul_f32_e32 v117, v43, v131
	v_sub_f32_e32 v23, v21, v23
	v_fma_f32 v20, v20, 2.0, -v22
	v_fma_f32 v13, v25, 2.0, -v27
	v_fmac_f32_e32 v17, 0xbf3504f3, v19
	v_fmac_f32_e32 v16, 0x3f3504f3, v19
	;; [unrolled: 1-line block ×3, first 2 shown]
	v_mov_b32_e32 v25, v37
	v_fmac_f32_e32 v117, v42, v130
	v_fma_f32 v21, v21, 2.0, -v23
	v_sub_f32_e32 v12, v20, v13
	v_fmac_f32_e32 v17, 0xbf3504f3, v18
	v_fma_f32 v18, v38, 2.0, -v16
	v_fmac_f32_e32 v25, 0x3f3504f3, v41
	v_fmac_f32_e32 v24, 0x3f3504f3, v41
	v_sub_f32_e32 v29, v104, v29
	v_sub_f32_e32 v38, v33, v115
	;; [unrolled: 1-line block ×5, first 2 shown]
	v_fma_f32 v14, v20, 2.0, -v12
	v_fma_f32 v19, v39, 2.0, -v17
	v_add_f32_e32 v20, v22, v40
	v_fmac_f32_e32 v25, 0xbf3504f3, v26
	v_fma_f32 v26, v36, 2.0, -v24
	v_sub_f32_e32 v30, v105, v30
	v_fma_f32 v36, v104, 2.0, -v29
	v_sub_f32_e32 v39, v34, v118
	;; [unrolled: 2-line block ×4, first 2 shown]
	v_fma_f32 v35, v35, 2.0, -v42
	v_fma_f32 v15, v21, 2.0, -v13
	v_sub_f32_e32 v21, v23, v27
	v_fma_f32 v27, v37, 2.0, -v25
	v_fma_f32 v37, v105, 2.0, -v30
	;; [unrolled: 1-line block ×5, first 2 shown]
	v_sub_f32_e32 v104, v36, v33
	v_sub_f32_e32 v110, v30, v38
	;; [unrolled: 1-line block ×4, first 2 shown]
	v_fma_f32 v33, v36, 2.0, -v104
	v_add_f32_e32 v109, v29, v39
	v_sub_f32_e32 v39, v32, v28
	v_fma_f32 v28, v41, 2.0, -v38
	v_fma_f32 v34, v37, 2.0, -v105
	;; [unrolled: 1-line block ×3, first 2 shown]
	v_sub_f32_e32 v42, v40, v42
	v_sub_f32_e32 v28, v33, v28
	v_fma_f32 v36, v29, 2.0, -v109
	v_add_f32_e32 v43, v31, v43
	v_fma_f32 v40, v40, 2.0, -v42
	v_fma_f32 v30, v33, 2.0, -v28
	v_mov_b32_e32 v33, v37
	v_fma_f32 v29, v32, 2.0, -v39
	v_fma_f32 v35, v31, 2.0, -v43
	v_mov_b32_e32 v32, v36
	v_fmac_f32_e32 v33, 0xbf3504f3, v40
	v_fmac_f32_e32 v32, 0xbf3504f3, v35
	;; [unrolled: 1-line block ×3, first 2 shown]
	v_mov_b32_e32 v41, v110
	v_mul_f32_e32 v47, v216, v230
	v_sub_f32_e32 v29, v34, v29
	v_fmac_f32_e32 v32, 0x3f3504f3, v40
	v_fma_f32 v35, v37, 2.0, -v33
	v_sub_f32_e32 v37, v105, v38
	v_mov_b32_e32 v40, v109
	v_fmac_f32_e32 v41, 0x3f3504f3, v42
	v_sub_f32_e32 v44, v116, v44
	v_sub_f32_e32 v108, v112, v108
	v_fmac_f32_e32 v47, v215, v229
	v_fma_f32 v31, v34, 2.0, -v29
	v_fma_f32 v34, v36, 2.0, -v32
	v_add_f32_e32 v36, v104, v39
	v_fma_f32 v39, v105, 2.0, -v37
	v_fmac_f32_e32 v40, 0x3f3504f3, v43
	v_fmac_f32_e32 v41, 0xbf3504f3, v43
	v_sub_f32_e32 v105, v107, v126
	v_sub_f32_e32 v45, v117, v45
	;; [unrolled: 1-line block ×3, first 2 shown]
	v_fma_f32 v114, v116, 2.0, -v44
	v_fma_f32 v112, v112, 2.0, -v108
	;; [unrolled: 1-line block ×3, first 2 shown]
	v_fmac_f32_e32 v40, 0x3f3504f3, v42
	v_fma_f32 v43, v110, 2.0, -v41
	v_sub_f32_e32 v104, v106, v113
	v_fma_f32 v107, v107, 2.0, -v105
	v_fma_f32 v110, v124, 2.0, -v46
	v_sub_f32_e32 v111, v121, v127
	v_sub_f32_e32 v47, v125, v47
	;; [unrolled: 1-line block ×4, first 2 shown]
	v_fma_f32 v42, v109, 2.0, -v40
	v_fma_f32 v106, v106, 2.0, -v104
	;; [unrolled: 1-line block ×3, first 2 shown]
	v_sub_f32_e32 v117, v107, v110
	v_add_f32_e32 v118, v104, v46
	v_fma_f32 v110, v105, 2.0, -v119
	v_fma_f32 v46, v114, 2.0, -v112
	v_add_f32_e32 v114, v111, v108
	v_sub_f32_e32 v120, v44, v47
	v_fma_f32 v113, v121, 2.0, -v111
	v_fma_f32 v115, v125, 2.0, -v47
	v_sub_f32_e32 v116, v106, v109
	v_fma_f32 v109, v104, 2.0, -v118
	v_fma_f32 v108, v111, 2.0, -v114
	;; [unrolled: 1-line block ×3, first 2 shown]
	v_mov_b32_e32 v105, v110
	v_sub_f32_e32 v115, v113, v115
	v_mov_b32_e32 v104, v109
	v_fmac_f32_e32 v105, 0xbf3504f3, v111
	v_fma_f32 v106, v106, 2.0, -v116
	v_fma_f32 v45, v113, 2.0, -v115
	v_fmac_f32_e32 v104, 0xbf3504f3, v108
	v_fmac_f32_e32 v105, 0xbf3504f3, v108
	v_add_f32_e32 v108, v116, v112
	v_mov_b32_e32 v112, v118
	v_mov_b32_e32 v113, v119
	v_fma_f32 v107, v107, 2.0, -v117
	v_sub_f32_e32 v44, v106, v45
	v_fmac_f32_e32 v104, 0x3f3504f3, v111
	v_fmac_f32_e32 v112, 0x3f3504f3, v114
	;; [unrolled: 1-line block ×3, first 2 shown]
	v_sub_f32_e32 v45, v107, v46
	v_fma_f32 v46, v106, 2.0, -v44
	v_fma_f32 v106, v109, 2.0, -v104
	v_sub_f32_e32 v109, v117, v115
	v_fmac_f32_e32 v112, 0x3f3504f3, v120
	v_fmac_f32_e32 v113, 0xbf3504f3, v114
	v_fma_f32 v22, v22, 2.0, -v20
	v_fma_f32 v23, v23, 2.0, -v21
	;; [unrolled: 1-line block ×8, first 2 shown]
	s_waitcnt lgkmcnt(0)
	; wave barrier
	ds_write2_b64 v237, v[14:15], v[18:19] offset1:10
	ds_write2_b64 v237, v[22:23], v[26:27] offset0:20 offset1:30
	ds_write2_b64 v237, v[12:13], v[16:17] offset0:40 offset1:50
	ds_write2_b64 v237, v[20:21], v[24:25] offset0:60 offset1:70
	ds_write2_b64 v238, v[30:31], v[34:35] offset1:10
	ds_write2_b64 v238, v[38:39], v[42:43] offset0:20 offset1:30
	ds_write2_b64 v238, v[28:29], v[32:33] offset0:40 offset1:50
	ds_write2_b64 v238, v[36:37], v[40:41] offset0:60 offset1:70
	;; [unrolled: 4-line block ×3, first 2 shown]
	s_and_saveexec_b64 s[0:1], vcc
	s_cbranch_execz .LBB0_9
; %bb.8:
	v_mul_f32_e32 v12, v3, v96
	v_fma_f32 v12, v2, v97, -v12
	v_mul_f32_e32 v19, v1, v103
	v_mul_f32_e32 v1, v1, v102
	v_sub_f32_e32 v13, v93, v12
	v_mul_f32_e32 v14, v11, v101
	v_mul_f32_e32 v12, v7, v49
	v_fmac_f32_e32 v19, v0, v102
	v_fma_f32 v22, v0, v103, -v1
	v_mul_f32_e32 v0, v210, v50
	v_fmac_f32_e32 v14, v10, v100
	v_fmac_f32_e32 v12, v6, v48
	v_fma_f32 v0, v209, v51, -v0
	v_sub_f32_e32 v15, v14, v12
	v_mul_f32_e32 v12, v9, v94
	v_sub_f32_e32 v23, v22, v0
	v_mul_f32_e32 v9, v9, v95
	v_mul_f32_e32 v0, v5, v99
	v_fmac_f32_e32 v9, v8, v94
	v_fmac_f32_e32 v0, v4, v98
	v_fma_f32 v17, v8, v95, -v12
	v_mul_f32_e32 v12, v5, v98
	v_sub_f32_e32 v8, v9, v0
	v_mul_f32_e32 v0, v11, v100
	v_fma_f32 v12, v4, v99, -v12
	v_fma_f32 v4, v10, v101, -v0
	v_mul_f32_e32 v0, v7, v48
	v_fma_f32 v0, v6, v49, -v0
	v_sub_f32_e32 v5, v4, v0
	v_mul_f32_e32 v0, v3, v97
	v_fmac_f32_e32 v0, v2, v96
	v_sub_f32_e32 v18, v17, v12
	v_mul_f32_e32 v12, v210, v51
	v_sub_f32_e32 v6, v92, v0
	v_fmac_f32_e32 v12, v209, v50
	v_add_f32_e32 v10, v5, v6
	v_sub_f32_e32 v20, v19, v12
	v_add_f32_e32 v24, v23, v8
	v_mov_b32_e32 v11, v10
	v_sub_f32_e32 v21, v18, v20
	v_fmac_f32_e32 v11, 0x3f3504f3, v24
	v_fmac_f32_e32 v11, 0x3f3504f3, v21
	v_fma_f32 v25, v93, 2.0, -v13
	v_fma_f32 v2, v4, 2.0, -v5
	v_sub_f32_e32 v16, v13, v15
	v_fma_f32 v0, v10, 2.0, -v11
	v_sub_f32_e32 v26, v25, v2
	v_fma_f32 v27, v9, 2.0, -v8
	v_fma_f32 v2, v19, 2.0, -v20
	;; [unrolled: 1-line block ×3, first 2 shown]
	v_sub_f32_e32 v19, v27, v2
	v_fma_f32 v20, v92, 2.0, -v6
	v_fma_f32 v2, v14, 2.0, -v15
	;; [unrolled: 1-line block ×4, first 2 shown]
	v_mov_b32_e32 v6, v10
	v_sub_f32_e32 v15, v20, v2
	v_fma_f32 v14, v17, 2.0, -v18
	v_fma_f32 v2, v22, 2.0, -v23
	;; [unrolled: 1-line block ×3, first 2 shown]
	v_mov_b32_e32 v7, v9
	v_fmac_f32_e32 v6, 0xbf3504f3, v8
	v_mov_b32_e32 v12, v16
	v_sub_f32_e32 v17, v14, v2
	v_fmac_f32_e32 v7, 0xbf3504f3, v13
	v_fmac_f32_e32 v6, 0x3f3504f3, v13
	;; [unrolled: 1-line block ×4, first 2 shown]
	v_fma_f32 v8, v10, 2.0, -v6
	v_fma_f32 v10, v25, 2.0, -v26
	;; [unrolled: 1-line block ×3, first 2 shown]
	v_fmac_f32_e32 v12, 0xbf3504f3, v24
	v_sub_f32_e32 v14, v10, v13
	v_fma_f32 v1, v16, 2.0, -v12
	v_fma_f32 v16, v10, 2.0, -v14
	v_fma_f32 v10, v20, 2.0, -v15
	v_fma_f32 v13, v27, 2.0, -v19
	v_add_f32_e32 v2, v15, v17
	v_sub_f32_e32 v13, v10, v13
	v_fma_f32 v4, v15, 2.0, -v2
	v_fma_f32 v15, v10, 2.0, -v13
	buffer_load_dword v10, off, s[20:23], 0 offset:20 ; 4-byte Folded Reload
	buffer_load_dword v17, off, s[20:23], 0 offset:24 ; 4-byte Folded Reload
	s_movk_i32 s4, 0x50
	v_sub_f32_e32 v3, v26, v19
	v_fma_f32 v9, v9, 2.0, -v7
	v_fma_f32 v5, v26, 2.0, -v3
	s_waitcnt vmcnt(1)
	v_mul_u32_u24_sdwa v10, v10, s4 dst_sel:DWORD dst_unused:UNUSED_PAD src0_sel:BYTE_1 src1_sel:DWORD
	s_waitcnt vmcnt(0)
	v_or_b32_e32 v10, v10, v17
	buffer_load_dword v17, off, s[20:23], 0 ; 4-byte Folded Reload
	s_waitcnt vmcnt(0)
	v_add_lshl_u32 v10, v17, v10, 3
	ds_write2_b64 v10, v[15:16], v[8:9] offset1:10
	ds_write2_b64 v10, v[4:5], v[0:1] offset0:20 offset1:30
	ds_write2_b64 v10, v[13:14], v[6:7] offset0:40 offset1:50
	;; [unrolled: 1-line block ×3, first 2 shown]
.LBB0_9:
	s_or_b64 exec, exec, s[0:1]
	s_waitcnt lgkmcnt(0)
	; wave barrier
	s_waitcnt lgkmcnt(0)
	ds_read2_b64 v[7:10], v232 offset0:80 offset1:96
	ds_read2_b64 v[11:14], v232 offset0:144 offset1:160
	v_add_u32_e32 v6, 0x400, v232
	ds_read2_b64 v[15:18], v6 offset0:112 offset1:128
	v_add_u32_e32 v5, 0x800, v232
	s_waitcnt lgkmcnt(2)
	v_mul_f32_e32 v4, v61, v8
	v_fmac_f32_e32 v4, v60, v7
	v_mul_f32_e32 v7, v61, v7
	v_fma_f32 v51, v60, v8, -v7
	s_waitcnt lgkmcnt(1)
	v_mul_f32_e32 v7, v63, v14
	v_fmac_f32_e32 v7, v62, v13
	v_mul_f32_e32 v8, v63, v13
	s_waitcnt lgkmcnt(0)
	v_mul_f32_e32 v13, v53, v16
	ds_read2_b64 v[19:22], v5 offset0:48 offset1:64
	ds_read2_b64 v[23:26], v5 offset0:144 offset1:160
	;; [unrolled: 1-line block ×11, first 2 shown]
	ds_read_b64 v[2:3], v255
	ds_read_b64 v[104:105], v232 offset:3712
	v_fma_f32 v8, v62, v14, -v8
	v_fmac_f32_e32 v13, v52, v15
	v_mul_f32_e32 v14, v53, v15
	s_waitcnt lgkmcnt(12)
	v_mul_f32_e32 v15, v55, v22
	v_fma_f32 v14, v52, v16, -v14
	v_fmac_f32_e32 v15, v54, v21
	v_mul_f32_e32 v16, v55, v21
	s_waitcnt lgkmcnt(11)
	v_mul_f32_e32 v21, v218, v24
	v_fma_f32 v16, v54, v22, -v16
	v_fmac_f32_e32 v21, v217, v23
	v_mul_f32_e32 v22, v218, v23
	v_mul_f32_e32 v23, v69, v10
	v_fmac_f32_e32 v23, v68, v9
	v_mul_f32_e32 v9, v69, v9
	v_fma_f32 v22, v217, v24, -v22
	v_fma_f32 v24, v68, v10, -v9
	s_waitcnt lgkmcnt(9)
	v_mul_f32_e32 v52, v71, v32
	v_mul_f32_e32 v9, v71, v31
	v_fmac_f32_e32 v52, v70, v31
	v_fma_f32 v31, v70, v32, -v9
	v_mul_f32_e32 v32, v57, v18
	v_mul_f32_e32 v9, v57, v17
	v_fmac_f32_e32 v32, v56, v17
	v_fma_f32 v17, v56, v18, -v9
	s_waitcnt lgkmcnt(8)
	v_mul_f32_e32 v18, v59, v36
	v_mul_f32_e32 v9, v59, v35
	v_fmac_f32_e32 v18, v58, v35
	v_fma_f32 v35, v58, v36, -v9
	v_mul_f32_e32 v36, v220, v26
	v_mul_f32_e32 v9, v220, v25
	v_fmac_f32_e32 v36, v219, v25
	;; [unrolled: 9-line block ×4, first 2 shown]
	v_fma_f32 v37, v66, v38, -v9
	s_waitcnt lgkmcnt(5)
	v_mul_f32_e32 v38, v222, v48
	v_mul_f32_e32 v9, v222, v47
	v_fmac_f32_e32 v38, v221, v47
	v_fma_f32 v47, v221, v48, -v9
	v_mul_f32_e32 v9, v81, v41
	v_fma_f32 v54, v80, v42, -v9
	s_waitcnt lgkmcnt(3)
	v_mul_f32_e32 v9, v83, v96
	v_mul_f32_e32 v48, v81, v42
	v_fma_f32 v42, v82, v97, -v9
	v_mul_f32_e32 v55, v73, v46
	v_mul_f32_e32 v9, v73, v45
	v_fmac_f32_e32 v55, v72, v45
	v_fma_f32 v45, v72, v46, -v9
	s_waitcnt lgkmcnt(2)
	v_mul_f32_e32 v9, v75, v100
	v_fma_f32 v56, v74, v101, -v9
	v_mul_f32_e32 v57, v224, v50
	v_mul_f32_e32 v9, v224, v49
	v_fmac_f32_e32 v57, v223, v49
	v_fma_f32 v49, v223, v50, -v9
	v_mul_f32_e32 v9, v89, v11
	v_fma_f32 v59, v88, v12, -v9
	v_mul_f32_e32 v9, v91, v98
	;; [unrolled: 2-line block ×4, first 2 shown]
	v_fma_f32 v65, v86, v103, -v9
	s_waitcnt lgkmcnt(0)
	v_mul_f32_e32 v9, v226, v104
	v_mul_f32_e32 v62, v85, v20
	v_fma_f32 v67, v225, v105, -v9
	v_add_f32_e32 v9, v2, v7
	v_fmac_f32_e32 v62, v84, v19
	v_add_f32_e32 v19, v9, v15
	v_add_f32_e32 v9, v7, v15
	v_fma_f32 v2, -0.5, v9, v2
	v_sub_f32_e32 v9, v8, v16
	v_mov_b32_e32 v20, v2
	v_fmac_f32_e32 v20, 0xbf5db3d7, v9
	v_fmac_f32_e32 v2, 0x3f5db3d7, v9
	v_add_f32_e32 v9, v3, v8
	v_add_f32_e32 v8, v8, v16
	v_fmac_f32_e32 v3, -0.5, v8
	v_add_f32_e32 v26, v9, v16
	v_sub_f32_e32 v7, v7, v15
	v_mov_b32_e32 v16, v3
	v_fmac_f32_e32 v16, 0x3f5db3d7, v7
	v_fmac_f32_e32 v3, 0xbf5db3d7, v7
	v_add_f32_e32 v7, v4, v13
	v_add_f32_e32 v15, v7, v21
	;; [unrolled: 1-line block ×3, first 2 shown]
	v_fmac_f32_e32 v4, -0.5, v7
	v_sub_f32_e32 v7, v14, v22
	v_mov_b32_e32 v10, v4
	v_fmac_f32_e32 v10, 0xbf5db3d7, v7
	v_fmac_f32_e32 v4, 0x3f5db3d7, v7
	v_add_f32_e32 v7, v51, v14
	v_add_f32_e32 v50, v7, v22
	;; [unrolled: 1-line block ×3, first 2 shown]
	v_fmac_f32_e32 v51, -0.5, v7
	v_mul_f32_e32 v58, v89, v12
	v_sub_f32_e32 v7, v13, v21
	v_mov_b32_e32 v12, v51
	v_fmac_f32_e32 v12, 0x3f5db3d7, v7
	v_mul_f32_e32 v14, 0xbf5db3d7, v12
	v_fmac_f32_e32 v51, 0xbf5db3d7, v7
	v_add_f32_e32 v7, v19, v15
	v_fmac_f32_e32 v14, 0.5, v10
	v_sub_f32_e32 v13, v19, v15
	v_add_f32_e32 v19, v52, v18
	v_add_f32_e32 v9, v20, v14
	v_mul_f32_e32 v21, 0xbf5db3d7, v51
	v_add_f32_e32 v8, v26, v50
	v_mul_f32_e32 v51, -0.5, v51
	v_sub_f32_e32 v15, v20, v14
	v_sub_f32_e32 v14, v26, v50
	v_fma_f32 v26, -0.5, v19, v27
	v_fmac_f32_e32 v21, -0.5, v4
	v_fmac_f32_e32 v51, 0x3f5db3d7, v4
	v_add_f32_e32 v4, v27, v52
	v_sub_f32_e32 v19, v31, v35
	v_mov_b32_e32 v27, v26
	v_fmac_f32_e32 v27, 0xbf5db3d7, v19
	v_fmac_f32_e32 v26, 0x3f5db3d7, v19
	v_add_f32_e32 v19, v28, v31
	v_add_f32_e32 v50, v19, v35
	;; [unrolled: 1-line block ×3, first 2 shown]
	v_fma_f32 v28, -0.5, v19, v28
	v_add_f32_e32 v4, v4, v18
	v_sub_f32_e32 v18, v52, v18
	v_mov_b32_e32 v31, v28
	v_fmac_f32_e32 v31, 0x3f5db3d7, v18
	v_fmac_f32_e32 v28, 0xbf5db3d7, v18
	v_add_f32_e32 v18, v23, v32
	v_add_f32_e32 v35, v18, v36
	v_add_f32_e32 v18, v32, v36
	v_fmac_f32_e32 v23, -0.5, v18
	v_sub_f32_e32 v18, v17, v25
	v_mov_b32_e32 v20, v23
	v_mul_f32_e32 v22, 0.5, v12
	v_fmac_f32_e32 v20, 0xbf5db3d7, v18
	v_fmac_f32_e32 v23, 0x3f5db3d7, v18
	v_add_f32_e32 v18, v24, v17
	v_add_f32_e32 v17, v17, v25
	v_fmac_f32_e32 v22, 0x3f5db3d7, v10
	v_fmac_f32_e32 v24, -0.5, v17
	v_add_f32_e32 v10, v16, v22
	v_sub_f32_e32 v16, v16, v22
	v_sub_f32_e32 v17, v32, v36
	v_mov_b32_e32 v22, v24
	v_fmac_f32_e32 v22, 0x3f5db3d7, v17
	v_fmac_f32_e32 v24, 0xbf5db3d7, v17
	v_add_f32_e32 v12, v3, v51
	v_sub_f32_e32 v3, v3, v51
	v_add_f32_e32 v51, v18, v25
	v_mul_f32_e32 v25, 0xbf5db3d7, v22
	v_mul_f32_e32 v32, 0xbf5db3d7, v24
	v_mul_f32_e32 v36, 0.5, v22
	v_fmac_f32_e32 v25, 0.5, v20
	v_fmac_f32_e32 v32, -0.5, v23
	v_fmac_f32_e32 v36, 0x3f5db3d7, v20
	v_fmac_f32_e32 v58, v88, v11
	v_add_f32_e32 v11, v2, v21
	v_sub_f32_e32 v2, v2, v21
	v_add_f32_e32 v19, v27, v25
	v_add_f32_e32 v21, v26, v32
	;; [unrolled: 1-line block ×3, first 2 shown]
	v_mul_f32_e32 v52, -0.5, v24
	v_sub_f32_e32 v25, v27, v25
	v_sub_f32_e32 v27, v26, v32
	;; [unrolled: 1-line block ×3, first 2 shown]
	v_add_f32_e32 v31, v40, v44
	v_add_f32_e32 v17, v4, v35
	v_fmac_f32_e32 v52, 0x3f5db3d7, v23
	v_sub_f32_e32 v23, v4, v35
	v_add_f32_e32 v4, v29, v40
	v_fma_f32 v29, -0.5, v31, v29
	v_add_f32_e32 v18, v50, v51
	v_sub_f32_e32 v24, v50, v51
	v_sub_f32_e32 v31, v33, v37
	v_mov_b32_e32 v50, v29
	v_fmac_f32_e32 v50, 0xbf5db3d7, v31
	v_fmac_f32_e32 v29, 0x3f5db3d7, v31
	v_add_f32_e32 v31, v30, v33
	v_add_f32_e32 v51, v31, v37
	;; [unrolled: 1-line block ×3, first 2 shown]
	v_fmac_f32_e32 v30, -0.5, v31
	v_sub_f32_e32 v31, v40, v44
	v_mov_b32_e32 v40, v30
	v_fmac_f32_e32 v40, 0x3f5db3d7, v31
	v_fmac_f32_e32 v30, 0xbf5db3d7, v31
	v_add_f32_e32 v31, v53, v34
	v_add_f32_e32 v37, v31, v38
	;; [unrolled: 1-line block ×3, first 2 shown]
	v_fmac_f32_e32 v53, -0.5, v31
	v_sub_f32_e32 v31, v43, v47
	v_mov_b32_e32 v36, v53
	v_fmac_f32_e32 v36, 0xbf5db3d7, v31
	v_fmac_f32_e32 v53, 0x3f5db3d7, v31
	v_add_f32_e32 v31, v39, v43
	v_add_f32_e32 v4, v4, v44
	v_add_f32_e32 v44, v31, v47
	v_add_f32_e32 v31, v43, v47
	v_fmac_f32_e32 v39, -0.5, v31
	v_sub_f32_e32 v31, v34, v38
	v_mov_b32_e32 v34, v39
	v_fmac_f32_e32 v39, 0xbf5db3d7, v31
	v_fmac_f32_e32 v48, v80, v41
	v_mul_f32_e32 v41, v83, v97
	v_mul_f32_e32 v46, v75, v101
	v_fmac_f32_e32 v34, 0x3f5db3d7, v31
	v_mul_f32_e32 v43, 0xbf5db3d7, v39
	v_fmac_f32_e32 v41, v82, v96
	v_fmac_f32_e32 v46, v74, v100
	v_mul_f32_e32 v38, 0xbf5db3d7, v34
	v_fmac_f32_e32 v43, -0.5, v53
	v_fmac_f32_e32 v38, 0.5, v36
	v_add_f32_e32 v35, v29, v43
	v_sub_f32_e32 v29, v29, v43
	v_add_f32_e32 v43, v41, v46
	v_add_f32_e32 v22, v28, v52
	v_sub_f32_e32 v28, v28, v52
	v_add_f32_e32 v33, v50, v38
	v_mul_f32_e32 v52, -0.5, v39
	v_sub_f32_e32 v39, v50, v38
	v_fma_f32 v50, -0.5, v43, v92
	v_add_f32_e32 v32, v51, v44
	v_sub_f32_e32 v38, v51, v44
	v_sub_f32_e32 v43, v42, v56
	v_mov_b32_e32 v51, v50
	v_fmac_f32_e32 v51, 0xbf5db3d7, v43
	v_fmac_f32_e32 v50, 0x3f5db3d7, v43
	v_add_f32_e32 v43, v93, v42
	v_add_f32_e32 v42, v42, v56
	v_mul_f32_e32 v47, 0.5, v34
	v_fmac_f32_e32 v52, 0x3f5db3d7, v53
	v_fma_f32 v53, -0.5, v42, v93
	v_add_f32_e32 v31, v4, v37
	v_fmac_f32_e32 v47, 0x3f5db3d7, v36
	v_add_f32_e32 v36, v30, v52
	v_sub_f32_e32 v37, v4, v37
	v_sub_f32_e32 v30, v30, v52
	v_add_f32_e32 v4, v92, v41
	v_add_f32_e32 v52, v43, v56
	v_sub_f32_e32 v41, v41, v46
	v_mov_b32_e32 v56, v53
	v_fmac_f32_e32 v56, 0x3f5db3d7, v41
	v_fmac_f32_e32 v53, 0xbf5db3d7, v41
	v_add_f32_e32 v41, v48, v55
	v_add_f32_e32 v34, v40, v47
	v_sub_f32_e32 v40, v40, v47
	v_add_f32_e32 v47, v41, v57
	v_add_f32_e32 v41, v55, v57
	v_fmac_f32_e32 v48, -0.5, v41
	v_sub_f32_e32 v41, v45, v49
	v_mov_b32_e32 v44, v48
	v_fmac_f32_e32 v44, 0xbf5db3d7, v41
	v_fmac_f32_e32 v48, 0x3f5db3d7, v41
	v_add_f32_e32 v41, v54, v45
	v_add_f32_e32 v68, v41, v49
	;; [unrolled: 1-line block ×3, first 2 shown]
	v_fmac_f32_e32 v54, -0.5, v41
	v_sub_f32_e32 v41, v55, v57
	v_add_f32_e32 v4, v4, v46
	v_mov_b32_e32 v46, v54
	v_fmac_f32_e32 v54, 0xbf5db3d7, v41
	v_mul_f32_e32 v60, v91, v99
	v_mul_f32_e32 v64, v87, v103
	;; [unrolled: 1-line block ×3, first 2 shown]
	v_mul_f32_e32 v54, -0.5, v54
	v_fmac_f32_e32 v60, v90, v98
	v_fmac_f32_e32 v64, v86, v102
	;; [unrolled: 1-line block ×4, first 2 shown]
	v_mul_f32_e32 v49, 0xbf5db3d7, v46
	v_fmac_f32_e32 v55, -0.5, v48
	v_add_f32_e32 v42, v52, v68
	v_mul_f32_e32 v57, 0.5, v46
	v_add_f32_e32 v46, v53, v54
	v_sub_f32_e32 v48, v52, v68
	v_sub_f32_e32 v52, v53, v54
	v_add_f32_e32 v53, v60, v64
	v_fma_f32 v68, -0.5, v53, v94
	v_sub_f32_e32 v53, v61, v65
	v_mov_b32_e32 v69, v68
	v_fmac_f32_e32 v69, 0xbf5db3d7, v53
	v_fmac_f32_e32 v68, 0x3f5db3d7, v53
	v_add_f32_e32 v53, v95, v61
	v_add_f32_e32 v70, v53, v65
	;; [unrolled: 1-line block ×4, first 2 shown]
	v_sub_f32_e32 v47, v4, v47
	v_add_f32_e32 v4, v94, v60
	v_fmac_f32_e32 v95, -0.5, v53
	v_mul_f32_e32 v66, v226, v105
	v_add_f32_e32 v4, v4, v64
	v_sub_f32_e32 v53, v60, v64
	v_mov_b32_e32 v64, v95
	v_fmac_f32_e32 v66, v225, v104
	v_fmac_f32_e32 v64, 0x3f5db3d7, v53
	;; [unrolled: 1-line block ×3, first 2 shown]
	v_add_f32_e32 v53, v58, v62
	v_add_f32_e32 v60, v53, v66
	;; [unrolled: 1-line block ×3, first 2 shown]
	v_fmac_f32_e32 v49, 0.5, v44
	v_fmac_f32_e32 v57, 0x3f5db3d7, v44
	v_fmac_f32_e32 v58, -0.5, v53
	v_add_f32_e32 v43, v51, v49
	v_add_f32_e32 v45, v50, v55
	;; [unrolled: 1-line block ×3, first 2 shown]
	v_sub_f32_e32 v49, v51, v49
	v_sub_f32_e32 v51, v50, v55
	;; [unrolled: 1-line block ×4, first 2 shown]
	v_mov_b32_e32 v56, v58
	v_fmac_f32_e32 v56, 0xbf5db3d7, v53
	v_fmac_f32_e32 v58, 0x3f5db3d7, v53
	v_add_f32_e32 v53, v59, v63
	v_add_f32_e32 v65, v53, v67
	v_add_f32_e32 v53, v63, v67
	v_fmac_f32_e32 v59, -0.5, v53
	v_sub_f32_e32 v53, v62, v66
	v_mov_b32_e32 v61, v59
	v_fmac_f32_e32 v61, 0x3f5db3d7, v53
	v_fmac_f32_e32 v59, 0xbf5db3d7, v53
	v_mul_f32_e32 v62, 0xbf5db3d7, v61
	v_mul_f32_e32 v63, 0xbf5db3d7, v59
	v_mul_f32_e32 v66, 0.5, v61
	v_mul_f32_e32 v67, -0.5, v59
	v_fmac_f32_e32 v62, 0.5, v56
	v_fmac_f32_e32 v63, -0.5, v58
	v_fmac_f32_e32 v66, 0x3f5db3d7, v56
	v_fmac_f32_e32 v67, 0x3f5db3d7, v58
	v_add_f32_e32 v53, v4, v60
	v_add_f32_e32 v55, v69, v62
	;; [unrolled: 1-line block ×6, first 2 shown]
	v_sub_f32_e32 v59, v4, v60
	v_sub_f32_e32 v61, v69, v62
	;; [unrolled: 1-line block ×6, first 2 shown]
	ds_write_b64 v255, v[7:8]
	ds_write2_b64 v232, v[9:10], v[19:20] offset0:80 offset1:96
	ds_write2_b64 v6, v[13:14], v[23:24] offset0:112 offset1:128
	;; [unrolled: 1-line block ×14, first 2 shown]
	ds_write_b64 v232, v[63:64] offset:3712
	s_waitcnt lgkmcnt(0)
	; wave barrier
	s_waitcnt lgkmcnt(0)
	ds_read_b64 v[3:4], v255
	ds_read_b64 v[37:38], v232 offset:3712
	buffer_load_dword v9, off, s[20:23], 0 offset:4 ; 4-byte Folded Reload
	buffer_load_dword v10, off, s[20:23], 0 offset:8 ; 4-byte Folded Reload
	v_mad_u64_u32 v[0:1], s[0:1], s10, v208, 0
	v_mad_u64_u32 v[11:12], s[4:5], s8, v231, 0
	;; [unrolled: 1-line block ×3, first 2 shown]
	s_mov_b32 s0, 0x11111111
	s_mov_b32 s1, 0x3f611111
	v_lshlrev_b64 v[0:1], 3, v[0:1]
	v_add_co_u32_e32 v15, vcc, s2, v0
	s_mul_i32 s2, s9, 0x180
	s_waitcnt vmcnt(0) lgkmcnt(1)
	v_mul_f32_e32 v2, v10, v4
	v_fmac_f32_e32 v2, v9, v3
	v_cvt_f64_f32_e32 v[7:8], v2
	v_mul_f32_e32 v2, v10, v3
	v_fma_f32 v2, v9, v4, -v2
	v_cvt_f64_f32_e32 v[2:3], v2
	v_mul_f64 v[7:8], v[7:8], s[0:1]
	v_mov_b32_e32 v4, v12
	v_mad_u64_u32 v[12:13], s[4:5], s9, v231, v[4:5]
	v_mul_f64 v[2:3], v[2:3], s[0:1]
	v_mov_b32_e32 v4, s3
	v_addc_co_u32_e32 v4, vcc, v4, v1, vcc
	v_cvt_f32_f64_e32 v13, v[7:8]
	ds_read2_b64 v[7:10], v232 offset0:48 offset1:64
	s_mul_hi_u32 s3, s8, 0x180
	s_add_i32 s2, s3, s2
	v_cvt_f32_f64_e32 v14, v[2:3]
	s_mul_i32 s3, s8, 0x180
	s_waitcnt lgkmcnt(0)
	v_mul_f32_e32 v2, v161, v8
	v_fmac_f32_e32 v2, v160, v7
	v_cvt_f64_f32_e32 v[2:3], v2
	v_mul_f32_e32 v7, v161, v7
	v_fma_f32 v7, v160, v8, -v7
	v_cvt_f64_f32_e32 v[7:8], v7
	v_mul_f64 v[0:1], v[2:3], s[0:1]
	v_lshlrev_b64 v[2:3], 3, v[11:12]
	v_mul_f64 v[7:8], v[7:8], s[0:1]
	v_add_co_u32_e32 v15, vcc, v15, v2
	v_addc_co_u32_e32 v16, vcc, v4, v3, vcc
	v_cvt_f32_f64_e32 v17, v[0:1]
	ds_read2_b64 v[0:3], v232 offset0:80 offset1:96
	v_add_co_u32_e32 v19, vcc, s3, v15
	v_cvt_f32_f64_e32 v18, v[7:8]
	global_store_dwordx2 v[15:16], v[13:14], off
	s_waitcnt lgkmcnt(0)
	v_mul_f32_e32 v4, v254, v3
	v_fmac_f32_e32 v4, v253, v2
	v_cvt_f64_f32_e32 v[7:8], v4
	v_mov_b32_e32 v4, s2
	v_addc_co_u32_e32 v20, vcc, v16, v4, vcc
	global_store_dwordx2 v[19:20], v[17:18], off
	ds_read2_b64 v[11:14], v232 offset0:144 offset1:160
	buffer_load_dword v17, off, s[20:23], 0 offset:12 ; 4-byte Folded Reload
	buffer_load_dword v18, off, s[20:23], 0 offset:16 ; 4-byte Folded Reload
	v_mul_f32_e32 v2, v254, v2
	v_fma_f32 v2, v253, v3, -v2
	v_cvt_f64_f32_e32 v[2:3], v2
	v_mul_f64 v[7:8], v[7:8], s[0:1]
	v_add_co_u32_e32 v21, vcc, s3, v19
	v_mul_f64 v[2:3], v[2:3], s[0:1]
	ds_read2_b64 v[27:30], v5 offset0:112 offset1:128
	ds_read2_b64 v[33:36], v232 offset0:16 offset1:32
	v_cvt_f32_f64_e32 v7, v[7:8]
	v_cvt_f32_f64_e32 v8, v[2:3]
	s_waitcnt vmcnt(0) lgkmcnt(2)
	v_mul_f32_e32 v4, v18, v12
	v_fmac_f32_e32 v4, v17, v11
	v_cvt_f64_f32_e32 v[15:16], v4
	v_mul_f32_e32 v11, v18, v11
	v_fma_f32 v11, v17, v12, -v11
	v_cvt_f64_f32_e32 v[11:12], v11
	v_mul_f64 v[2:3], v[15:16], s[0:1]
	ds_read2_b64 v[15:18], v232 offset0:176 offset1:192
	v_mov_b32_e32 v4, s2
	v_addc_co_u32_e32 v22, vcc, v20, v4, vcc
	global_store_dwordx2 v[21:22], v[7:8], off
	v_mul_f64 v[7:8], v[11:12], s[0:1]
	v_add_co_u32_e32 v25, vcc, s3, v21
	v_cvt_f32_f64_e32 v2, v[2:3]
	s_waitcnt lgkmcnt(0)
	v_mul_f32_e32 v3, v155, v18
	v_fmac_f32_e32 v3, v154, v17
	v_cvt_f64_f32_e32 v[11:12], v3
	v_mul_f32_e32 v3, v155, v17
	v_fma_f32 v3, v154, v18, -v3
	v_cvt_f64_f32_e32 v[17:18], v3
	v_cvt_f32_f64_e32 v3, v[7:8]
	v_mul_f64 v[7:8], v[11:12], s[0:1]
	v_addc_co_u32_e32 v26, vcc, v22, v4, vcc
	v_mul_f64 v[11:12], v[17:18], s[0:1]
	ds_read2_b64 v[17:20], v6 offset0:112 offset1:128
	global_store_dwordx2 v[25:26], v[2:3], off
	ds_read2_b64 v[21:24], v5 offset0:16 offset1:32
	v_cvt_f32_f64_e32 v6, v[7:8]
	s_waitcnt lgkmcnt(1)
	v_mul_f32_e32 v2, v157, v18
	v_fmac_f32_e32 v2, v156, v17
	v_cvt_f64_f32_e32 v[2:3], v2
	v_mul_f32_e32 v8, v157, v17
	v_fma_f32 v8, v156, v18, -v8
	v_cvt_f32_f64_e32 v7, v[11:12]
	v_mul_f64 v[2:3], v[2:3], s[0:1]
	v_cvt_f64_f32_e32 v[11:12], v8
	v_add_co_u32_e32 v17, vcc, s3, v25
	v_addc_co_u32_e32 v18, vcc, v26, v4, vcc
	global_store_dwordx2 v[17:18], v[6:7], off
	v_mul_f64 v[6:7], v[11:12], s[0:1]
	v_cvt_f32_f64_e32 v2, v[2:3]
	s_waitcnt lgkmcnt(0)
	v_mul_f32_e32 v3, v165, v24
	v_fmac_f32_e32 v3, v164, v23
	v_cvt_f64_f32_e32 v[11:12], v3
	v_mul_f32_e32 v3, v165, v23
	v_fma_f32 v3, v164, v24, -v3
	v_cvt_f64_f32_e32 v[23:24], v3
	v_cvt_f32_f64_e32 v3, v[6:7]
	v_mul_f64 v[6:7], v[11:12], s[0:1]
	v_add_co_u32_e32 v17, vcc, s3, v17
	v_mul_f64 v[11:12], v[23:24], s[0:1]
	ds_read2_b64 v[23:26], v5 offset0:80 offset1:96
	v_addc_co_u32_e32 v18, vcc, v18, v4, vcc
	global_store_dwordx2 v[17:18], v[2:3], off
	v_cvt_f32_f64_e32 v6, v[6:7]
	s_waitcnt lgkmcnt(0)
	v_mul_f32_e32 v2, v159, v24
	v_fmac_f32_e32 v2, v158, v23
	v_cvt_f64_f32_e32 v[2:3], v2
	v_mul_f32_e32 v8, v159, v23
	v_fma_f32 v8, v158, v24, -v8
	v_cvt_f32_f64_e32 v7, v[11:12]
	v_mul_f64 v[2:3], v[2:3], s[0:1]
	v_cvt_f64_f32_e32 v[11:12], v8
	v_add_co_u32_e32 v17, vcc, s3, v17
	v_addc_co_u32_e32 v18, vcc, v18, v4, vcc
	global_store_dwordx2 v[17:18], v[6:7], off
	v_mul_f64 v[6:7], v[11:12], s[0:1]
	v_cvt_f32_f64_e32 v2, v[2:3]
	v_mul_f32_e32 v3, v167, v30
	v_fmac_f32_e32 v3, v166, v29
	v_cvt_f64_f32_e32 v[11:12], v3
	v_mul_f32_e32 v3, v167, v29
	v_fma_f32 v3, v166, v30, -v3
	v_cvt_f64_f32_e32 v[23:24], v3
	v_cvt_f32_f64_e32 v3, v[6:7]
	v_mul_f64 v[6:7], v[11:12], s[0:1]
	ds_read2_b64 v[29:32], v5 offset0:176 offset1:192
	v_mul_f64 v[11:12], v[23:24], s[0:1]
	v_add_co_u32_e32 v17, vcc, s3, v17
	v_addc_co_u32_e32 v18, vcc, v18, v4, vcc
	global_store_dwordx2 v[17:18], v[2:3], off
	v_cvt_f32_f64_e32 v2, v[6:7]
	s_waitcnt lgkmcnt(0)
	v_mul_f32_e32 v6, v175, v30
	v_mul_f32_e32 v8, v175, v29
	v_fmac_f32_e32 v6, v174, v29
	v_fma_f32 v8, v174, v30, -v8
	v_cvt_f32_f64_e32 v3, v[11:12]
	v_cvt_f64_f32_e32 v[6:7], v6
	v_cvt_f64_f32_e32 v[11:12], v8
	v_add_co_u32_e32 v17, vcc, s3, v17
	v_addc_co_u32_e32 v18, vcc, v18, v4, vcc
	global_store_dwordx2 v[17:18], v[2:3], off
	v_mul_f64 v[2:3], v[6:7], s[0:1]
	v_mul_f64 v[6:7], v[11:12], s[0:1]
	v_mul_f32_e32 v4, v173, v34
	v_fmac_f32_e32 v4, v172, v33
	v_cvt_f64_f32_e32 v[11:12], v4
	v_mul_f32_e32 v4, v173, v33
	v_fma_f32 v4, v172, v34, -v4
	v_cvt_f64_f32_e32 v[23:24], v4
	v_cvt_f32_f64_e32 v2, v[2:3]
	v_cvt_f32_f64_e32 v3, v[6:7]
	v_mul_f64 v[6:7], v[11:12], s[0:1]
	v_mul_f64 v[11:12], v[23:24], s[0:1]
	v_mov_b32_e32 v4, s2
	v_add_co_u32_e32 v17, vcc, s3, v17
	v_addc_co_u32_e32 v18, vcc, v18, v4, vcc
	v_mul_f32_e32 v4, v163, v10
	v_fmac_f32_e32 v4, v162, v9
	global_store_dwordx2 v[17:18], v[2:3], off
	v_cvt_f32_f64_e32 v2, v[6:7]
	v_cvt_f64_f32_e32 v[6:7], v4
	v_mov_b32_e32 v33, 0xfffff300
	v_mul_f32_e32 v4, v163, v9
	v_cvt_f32_f64_e32 v3, v[11:12]
	v_mad_u64_u32 v[11:12], s[4:5], s8, v33, v[17:18]
	v_mul_f64 v[17:18], v[6:7], s[0:1]
	v_fma_f32 v4, v162, v10, -v4
	ds_read2_b64 v[6:9], v232 offset0:112 offset1:128
	v_cvt_f64_f32_e32 v[23:24], v4
	s_mul_i32 s4, s9, 0xfffff300
	s_sub_i32 s6, s4, s8
	v_add_u32_e32 v12, s6, v12
	global_store_dwordx2 v[11:12], v[2:3], off
	v_mul_f64 v[2:3], v[23:24], s[0:1]
	s_waitcnt lgkmcnt(0)
	v_mul_f32_e32 v4, v171, v7
	v_fmac_f32_e32 v4, v170, v6
	v_cvt_f64_f32_e32 v[23:24], v4
	v_mul_f32_e32 v4, v171, v6
	v_fma_f32 v4, v170, v7, -v4
	v_cvt_f64_f32_e32 v[6:7], v4
	v_cvt_f32_f64_e32 v17, v[17:18]
	v_cvt_f32_f64_e32 v18, v[2:3]
	v_mul_f64 v[2:3], v[23:24], s[0:1]
	v_mul_f64 v[6:7], v[6:7], s[0:1]
	v_mov_b32_e32 v4, s2
	v_add_co_u32_e32 v23, vcc, s3, v11
	v_addc_co_u32_e32 v24, vcc, v12, v4, vcc
	v_mul_f32_e32 v4, v169, v14
	v_fmac_f32_e32 v4, v168, v13
	v_cvt_f64_f32_e32 v[10:11], v4
	v_cvt_f32_f64_e32 v2, v[2:3]
	v_cvt_f32_f64_e32 v3, v[6:7]
	global_store_dwordx2 v[23:24], v[17:18], off
	v_mul_f64 v[6:7], v[10:11], s[0:1]
	v_mul_f32_e32 v10, v169, v13
	v_fma_f32 v10, v168, v14, -v10
	v_cvt_f64_f32_e32 v[17:18], v10
	ds_read2_b64 v[10:13], v232 offset0:208 offset1:224
	v_mov_b32_e32 v4, s2
	v_add_co_u32_e32 v23, vcc, s3, v23
	v_addc_co_u32_e32 v24, vcc, v24, v4, vcc
	global_store_dwordx2 v[23:24], v[2:3], off
	v_mul_f64 v[2:3], v[17:18], s[0:1]
	s_waitcnt lgkmcnt(0)
	v_mul_f32_e32 v4, v201, v11
	v_fmac_f32_e32 v4, v200, v10
	v_cvt_f64_f32_e32 v[17:18], v4
	v_mul_f32_e32 v4, v201, v10
	v_fma_f32 v4, v200, v11, -v4
	v_cvt_f64_f32_e32 v[10:11], v4
	v_cvt_f32_f64_e32 v6, v[6:7]
	v_cvt_f32_f64_e32 v7, v[2:3]
	v_mul_f64 v[2:3], v[17:18], s[0:1]
	v_mul_f64 v[10:11], v[10:11], s[0:1]
	v_mov_b32_e32 v4, s2
	v_add_co_u32_e32 v23, vcc, s3, v23
	v_addc_co_u32_e32 v24, vcc, v24, v4, vcc
	v_mul_f32_e32 v4, v203, v20
	v_cvt_f32_f64_e32 v2, v[2:3]
	v_cvt_f32_f64_e32 v3, v[10:11]
	v_mul_f32_e32 v10, v203, v19
	v_fmac_f32_e32 v4, v202, v19
	v_fma_f32 v10, v202, v20, -v10
	global_store_dwordx2 v[23:24], v[6:7], off
	v_cvt_f64_f32_e32 v[6:7], v4
	v_cvt_f64_f32_e32 v[10:11], v10
	ds_read2_b64 v[17:20], v5 offset0:48 offset1:64
	v_mov_b32_e32 v4, s2
	v_add_co_u32_e32 v23, vcc, s3, v23
	v_addc_co_u32_e32 v24, vcc, v24, v4, vcc
	v_mul_f64 v[6:7], v[6:7], s[0:1]
	global_store_dwordx2 v[23:24], v[2:3], off
	v_mul_f64 v[2:3], v[10:11], s[0:1]
	s_waitcnt lgkmcnt(0)
	v_mul_f32_e32 v4, v197, v18
	v_fmac_f32_e32 v4, v196, v17
	v_cvt_f64_f32_e32 v[10:11], v4
	v_mul_f32_e32 v4, v197, v17
	v_fma_f32 v4, v196, v18, -v4
	v_cvt_f64_f32_e32 v[17:18], v4
	v_cvt_f32_f64_e32 v6, v[6:7]
	v_cvt_f32_f64_e32 v7, v[2:3]
	v_mul_f64 v[2:3], v[10:11], s[0:1]
	v_mov_b32_e32 v4, s2
	v_mul_f64 v[10:11], v[17:18], s[0:1]
	v_add_co_u32_e32 v17, vcc, s3, v23
	v_addc_co_u32_e32 v18, vcc, v24, v4, vcc
	v_mul_f32_e32 v4, v199, v26
	v_fmac_f32_e32 v4, v198, v25
	global_store_dwordx2 v[17:18], v[6:7], off
	v_cvt_f64_f32_e32 v[6:7], v4
	v_cvt_f32_f64_e32 v23, v[2:3]
	v_mul_f32_e32 v2, v199, v25
	v_fma_f32 v2, v198, v26, -v2
	v_mul_f64 v[6:7], v[6:7], s[0:1]
	v_cvt_f32_f64_e32 v24, v[10:11]
	v_cvt_f64_f32_e32 v[10:11], v2
	ds_read2_b64 v[2:5], v5 offset0:144 offset1:160
	v_mov_b32_e32 v14, s2
	v_add_co_u32_e32 v17, vcc, s3, v17
	v_mul_f64 v[10:11], v[10:11], s[0:1]
	v_cvt_f32_f64_e32 v6, v[6:7]
	s_waitcnt lgkmcnt(0)
	v_mul_f32_e32 v7, v205, v3
	v_fmac_f32_e32 v7, v204, v2
	v_mul_f32_e32 v2, v205, v2
	v_addc_co_u32_e32 v18, vcc, v18, v14, vcc
	v_fma_f32 v2, v204, v3, -v2
	global_store_dwordx2 v[17:18], v[23:24], off
	v_cvt_f64_f32_e32 v[23:24], v7
	v_cvt_f64_f32_e32 v[2:3], v2
	v_cvt_f32_f64_e32 v7, v[10:11]
	v_add_co_u32_e32 v17, vcc, s3, v17
	v_mul_f64 v[10:11], v[23:24], s[0:1]
	v_mul_f64 v[2:3], v[2:3], s[0:1]
	v_addc_co_u32_e32 v18, vcc, v18, v14, vcc
	global_store_dwordx2 v[17:18], v[6:7], off
	v_mul_f32_e32 v6, v207, v32
	v_fmac_f32_e32 v6, v206, v31
	v_cvt_f64_f32_e32 v[6:7], v6
	v_cvt_f32_f64_e32 v10, v[10:11]
	v_cvt_f32_f64_e32 v11, v[2:3]
	v_add_co_u32_e32 v17, vcc, s3, v17
	v_mul_f64 v[2:3], v[6:7], s[0:1]
	v_mul_f32_e32 v6, v207, v31
	v_fma_f32 v6, v206, v32, -v6
	v_cvt_f64_f32_e32 v[6:7], v6
	v_addc_co_u32_e32 v18, vcc, v18, v14, vcc
	v_add_co_u32_e32 v29, vcc, s3, v17
	v_mul_f64 v[6:7], v[6:7], s[0:1]
	v_cvt_f32_f64_e32 v2, v[2:3]
	v_mul_f32_e32 v3, v177, v36
	v_fmac_f32_e32 v3, v176, v35
	v_cvt_f64_f32_e32 v[23:24], v3
	v_mul_f32_e32 v3, v177, v35
	v_fma_f32 v3, v176, v36, -v3
	v_cvt_f64_f32_e32 v[25:26], v3
	v_cvt_f32_f64_e32 v3, v[6:7]
	v_mul_f64 v[6:7], v[23:24], s[0:1]
	v_addc_co_u32_e32 v30, vcc, v18, v14, vcc
	v_mul_f64 v[23:24], v[25:26], s[0:1]
	v_mul_f32_e32 v25, v179, v1
	v_fmac_f32_e32 v25, v178, v0
	v_mul_f32_e32 v0, v179, v0
	v_fma_f32 v0, v178, v1, -v0
	v_cvt_f64_f32_e32 v[0:1], v0
	v_cvt_f64_f32_e32 v[25:26], v25
	v_mad_u64_u32 v[31:32], s[4:5], s8, v33, v[29:30]
	v_mul_f64 v[0:1], v[0:1], s[0:1]
	v_mul_f64 v[25:26], v[25:26], s[0:1]
	v_cvt_f32_f64_e32 v6, v[6:7]
	v_cvt_f32_f64_e32 v7, v[23:24]
	v_add_u32_e32 v32, s6, v32
	global_store_dwordx2 v[17:18], v[10:11], off
	global_store_dwordx2 v[29:30], v[2:3], off
	v_mov_b32_e32 v10, s2
	global_store_dwordx2 v[31:32], v[6:7], off
	v_cvt_f32_f64_e32 v3, v[0:1]
	v_mul_f32_e32 v0, v185, v9
	v_mul_f32_e32 v6, v185, v8
	v_fmac_f32_e32 v0, v184, v8
	v_fma_f32 v6, v184, v9, -v6
	v_cvt_f32_f64_e32 v2, v[25:26]
	v_cvt_f64_f32_e32 v[0:1], v0
	v_cvt_f64_f32_e32 v[6:7], v6
	v_add_co_u32_e32 v8, vcc, s3, v31
	v_addc_co_u32_e32 v9, vcc, v32, v10, vcc
	global_store_dwordx2 v[8:9], v[2:3], off
	v_mul_f64 v[0:1], v[0:1], s[0:1]
	v_mul_f64 v[2:3], v[6:7], s[0:1]
	v_mul_f32_e32 v6, v181, v16
	v_mul_f32_e32 v10, v181, v15
	v_fmac_f32_e32 v6, v180, v15
	v_fma_f32 v10, v180, v16, -v10
	v_cvt_f64_f32_e32 v[6:7], v6
	v_cvt_f64_f32_e32 v[10:11], v10
	v_cvt_f32_f64_e32 v0, v[0:1]
	v_cvt_f32_f64_e32 v1, v[2:3]
	v_mul_f64 v[2:3], v[6:7], s[0:1]
	v_mul_f64 v[6:7], v[10:11], s[0:1]
	v_mov_b32_e32 v10, s2
	v_add_co_u32_e32 v8, vcc, s3, v8
	v_addc_co_u32_e32 v9, vcc, v9, v10, vcc
	global_store_dwordx2 v[8:9], v[0:1], off
	v_cvt_f32_f64_e32 v0, v[2:3]
	v_cvt_f32_f64_e32 v1, v[6:7]
	v_mul_f32_e32 v2, v183, v13
	v_mul_f32_e32 v6, v183, v12
	v_fmac_f32_e32 v2, v182, v12
	v_fma_f32 v6, v182, v13, -v6
	v_cvt_f64_f32_e32 v[2:3], v2
	v_cvt_f64_f32_e32 v[6:7], v6
	v_add_co_u32_e32 v8, vcc, s3, v8
	v_addc_co_u32_e32 v9, vcc, v9, v10, vcc
	global_store_dwordx2 v[8:9], v[0:1], off
	v_mul_f64 v[0:1], v[2:3], s[0:1]
	v_mul_f64 v[2:3], v[6:7], s[0:1]
	v_mul_f32_e32 v6, v187, v22
	v_mul_f32_e32 v10, v187, v21
	v_fmac_f32_e32 v6, v186, v21
	v_fma_f32 v10, v186, v22, -v10
	v_cvt_f64_f32_e32 v[6:7], v6
	v_cvt_f64_f32_e32 v[10:11], v10
	v_cvt_f32_f64_e32 v0, v[0:1]
	v_cvt_f32_f64_e32 v1, v[2:3]
	v_mul_f64 v[2:3], v[6:7], s[0:1]
	v_mul_f64 v[6:7], v[10:11], s[0:1]
	v_mov_b32_e32 v10, s2
	v_add_co_u32_e32 v8, vcc, s3, v8
	v_addc_co_u32_e32 v9, vcc, v9, v10, vcc
	global_store_dwordx2 v[8:9], v[0:1], off
	v_cvt_f32_f64_e32 v0, v[2:3]
	v_cvt_f32_f64_e32 v1, v[6:7]
	v_mul_f32_e32 v2, v193, v20
	v_mul_f32_e32 v6, v193, v19
	v_fmac_f32_e32 v2, v192, v19
	v_fma_f32 v6, v192, v20, -v6
	v_cvt_f64_f32_e32 v[2:3], v2
	v_cvt_f64_f32_e32 v[6:7], v6
	v_add_co_u32_e32 v8, vcc, s3, v8
	v_addc_co_u32_e32 v9, vcc, v9, v10, vcc
	global_store_dwordx2 v[8:9], v[0:1], off
	v_mul_f64 v[0:1], v[2:3], s[0:1]
	v_mul_f64 v[2:3], v[6:7], s[0:1]
	v_mul_f32_e32 v6, v189, v28
	v_fmac_f32_e32 v6, v188, v27
	v_cvt_f64_f32_e32 v[6:7], v6
	v_mul_f32_e32 v10, v189, v27
	v_fma_f32 v10, v188, v28, -v10
	v_cvt_f64_f32_e32 v[10:11], v10
	v_cvt_f32_f64_e32 v0, v[0:1]
	v_cvt_f32_f64_e32 v1, v[2:3]
	v_mul_f64 v[2:3], v[6:7], s[0:1]
	v_mul_f64 v[6:7], v[10:11], s[0:1]
	v_mov_b32_e32 v10, s2
	v_add_co_u32_e32 v8, vcc, s3, v8
	v_addc_co_u32_e32 v9, vcc, v9, v10, vcc
	global_store_dwordx2 v[8:9], v[0:1], off
	v_cvt_f32_f64_e32 v0, v[2:3]
	v_mul_f32_e32 v2, v191, v5
	v_fmac_f32_e32 v2, v190, v4
	v_mul_f32_e32 v4, v191, v4
	v_fma_f32 v4, v190, v5, -v4
	v_cvt_f32_f64_e32 v1, v[6:7]
	v_cvt_f64_f32_e32 v[2:3], v2
	v_cvt_f64_f32_e32 v[4:5], v4
	v_mov_b32_e32 v7, s2
	v_add_co_u32_e32 v6, vcc, s3, v8
	v_addc_co_u32_e32 v7, vcc, v9, v7, vcc
	global_store_dwordx2 v[6:7], v[0:1], off
	v_mul_f64 v[0:1], v[2:3], s[0:1]
	v_mul_f64 v[2:3], v[4:5], s[0:1]
	v_mul_f32_e32 v4, v195, v38
	v_mul_f32_e32 v8, v195, v37
	v_fmac_f32_e32 v4, v194, v37
	v_fma_f32 v8, v194, v38, -v8
	v_cvt_f64_f32_e32 v[4:5], v4
	v_cvt_f64_f32_e32 v[8:9], v8
	v_cvt_f32_f64_e32 v0, v[0:1]
	v_cvt_f32_f64_e32 v1, v[2:3]
	v_mul_f64 v[2:3], v[4:5], s[0:1]
	v_mul_f64 v[4:5], v[8:9], s[0:1]
	v_mov_b32_e32 v8, s2
	v_add_co_u32_e32 v6, vcc, s3, v6
	v_addc_co_u32_e32 v7, vcc, v7, v8, vcc
	global_store_dwordx2 v[6:7], v[0:1], off
	v_cvt_f32_f64_e32 v0, v[2:3]
	v_cvt_f32_f64_e32 v1, v[4:5]
	v_mov_b32_e32 v3, s2
	v_add_co_u32_e32 v2, vcc, s3, v6
	v_addc_co_u32_e32 v3, vcc, v7, v3, vcc
	global_store_dwordx2 v[2:3], v[0:1], off
.LBB0_10:
	s_endpgm
	.section	.rodata,"a",@progbits
	.p2align	6, 0x0
	.amdhsa_kernel bluestein_single_back_len480_dim1_sp_op_CI_CI
		.amdhsa_group_segment_fixed_size 15360
		.amdhsa_private_segment_fixed_size 32
		.amdhsa_kernarg_size 104
		.amdhsa_user_sgpr_count 6
		.amdhsa_user_sgpr_private_segment_buffer 1
		.amdhsa_user_sgpr_dispatch_ptr 0
		.amdhsa_user_sgpr_queue_ptr 0
		.amdhsa_user_sgpr_kernarg_segment_ptr 1
		.amdhsa_user_sgpr_dispatch_id 0
		.amdhsa_user_sgpr_flat_scratch_init 0
		.amdhsa_user_sgpr_private_segment_size 0
		.amdhsa_uses_dynamic_stack 0
		.amdhsa_system_sgpr_private_segment_wavefront_offset 1
		.amdhsa_system_sgpr_workgroup_id_x 1
		.amdhsa_system_sgpr_workgroup_id_y 0
		.amdhsa_system_sgpr_workgroup_id_z 0
		.amdhsa_system_sgpr_workgroup_info 0
		.amdhsa_system_vgpr_workitem_id 0
		.amdhsa_next_free_vgpr 256
		.amdhsa_next_free_sgpr 24
		.amdhsa_reserve_vcc 1
		.amdhsa_reserve_flat_scratch 0
		.amdhsa_float_round_mode_32 0
		.amdhsa_float_round_mode_16_64 0
		.amdhsa_float_denorm_mode_32 3
		.amdhsa_float_denorm_mode_16_64 3
		.amdhsa_dx10_clamp 1
		.amdhsa_ieee_mode 1
		.amdhsa_fp16_overflow 0
		.amdhsa_exception_fp_ieee_invalid_op 0
		.amdhsa_exception_fp_denorm_src 0
		.amdhsa_exception_fp_ieee_div_zero 0
		.amdhsa_exception_fp_ieee_overflow 0
		.amdhsa_exception_fp_ieee_underflow 0
		.amdhsa_exception_fp_ieee_inexact 0
		.amdhsa_exception_int_div_zero 0
	.end_amdhsa_kernel
	.text
.Lfunc_end0:
	.size	bluestein_single_back_len480_dim1_sp_op_CI_CI, .Lfunc_end0-bluestein_single_back_len480_dim1_sp_op_CI_CI
                                        ; -- End function
	.section	.AMDGPU.csdata,"",@progbits
; Kernel info:
; codeLenInByte = 21264
; NumSgprs: 28
; NumVgprs: 256
; ScratchSize: 32
; MemoryBound: 0
; FloatMode: 240
; IeeeMode: 1
; LDSByteSize: 15360 bytes/workgroup (compile time only)
; SGPRBlocks: 3
; VGPRBlocks: 63
; NumSGPRsForWavesPerEU: 28
; NumVGPRsForWavesPerEU: 256
; Occupancy: 1
; WaveLimiterHint : 1
; COMPUTE_PGM_RSRC2:SCRATCH_EN: 1
; COMPUTE_PGM_RSRC2:USER_SGPR: 6
; COMPUTE_PGM_RSRC2:TRAP_HANDLER: 0
; COMPUTE_PGM_RSRC2:TGID_X_EN: 1
; COMPUTE_PGM_RSRC2:TGID_Y_EN: 0
; COMPUTE_PGM_RSRC2:TGID_Z_EN: 0
; COMPUTE_PGM_RSRC2:TIDIG_COMP_CNT: 0
	.type	__hip_cuid_2485e91686456417,@object ; @__hip_cuid_2485e91686456417
	.section	.bss,"aw",@nobits
	.globl	__hip_cuid_2485e91686456417
__hip_cuid_2485e91686456417:
	.byte	0                               ; 0x0
	.size	__hip_cuid_2485e91686456417, 1

	.ident	"AMD clang version 19.0.0git (https://github.com/RadeonOpenCompute/llvm-project roc-6.4.0 25133 c7fe45cf4b819c5991fe208aaa96edf142730f1d)"
	.section	".note.GNU-stack","",@progbits
	.addrsig
	.addrsig_sym __hip_cuid_2485e91686456417
	.amdgpu_metadata
---
amdhsa.kernels:
  - .args:
      - .actual_access:  read_only
        .address_space:  global
        .offset:         0
        .size:           8
        .value_kind:     global_buffer
      - .actual_access:  read_only
        .address_space:  global
        .offset:         8
        .size:           8
        .value_kind:     global_buffer
      - .actual_access:  read_only
        .address_space:  global
        .offset:         16
        .size:           8
        .value_kind:     global_buffer
      - .actual_access:  read_only
        .address_space:  global
        .offset:         24
        .size:           8
        .value_kind:     global_buffer
      - .actual_access:  read_only
        .address_space:  global
        .offset:         32
        .size:           8
        .value_kind:     global_buffer
      - .offset:         40
        .size:           8
        .value_kind:     by_value
      - .address_space:  global
        .offset:         48
        .size:           8
        .value_kind:     global_buffer
      - .address_space:  global
        .offset:         56
        .size:           8
        .value_kind:     global_buffer
      - .address_space:  global
        .offset:         64
        .size:           8
        .value_kind:     global_buffer
      - .address_space:  global
        .offset:         72
        .size:           8
        .value_kind:     global_buffer
      - .offset:         80
        .size:           4
        .value_kind:     by_value
      - .address_space:  global
        .offset:         88
        .size:           8
        .value_kind:     global_buffer
      - .address_space:  global
        .offset:         96
        .size:           8
        .value_kind:     global_buffer
    .group_segment_fixed_size: 15360
    .kernarg_segment_align: 8
    .kernarg_segment_size: 104
    .language:       OpenCL C
    .language_version:
      - 2
      - 0
    .max_flat_workgroup_size: 64
    .name:           bluestein_single_back_len480_dim1_sp_op_CI_CI
    .private_segment_fixed_size: 32
    .sgpr_count:     28
    .sgpr_spill_count: 0
    .symbol:         bluestein_single_back_len480_dim1_sp_op_CI_CI.kd
    .uniform_work_group_size: 1
    .uses_dynamic_stack: false
    .vgpr_count:     256
    .vgpr_spill_count: 7
    .wavefront_size: 64
amdhsa.target:   amdgcn-amd-amdhsa--gfx906
amdhsa.version:
  - 1
  - 2
...

	.end_amdgpu_metadata
